;; amdgpu-corpus repo=ggml-org/llama.cpp kind=compiled arch=gfx1030 opt=O3
	.amdgcn_target "amdgcn-amd-amdhsa--gfx1030"
	.amdhsa_code_object_version 6
	.section	.text._ZL15flash_attn_tileILi192ELi128ELi2ELi16ELb0EEvPKcS1_S1_S1_S1_PKiPfP15HIP_vector_typeIfLj2EEffffjfiS5_IjLj3EEiiiiiiiiiiiliiliiiiil,"axG",@progbits,_ZL15flash_attn_tileILi192ELi128ELi2ELi16ELb0EEvPKcS1_S1_S1_S1_PKiPfP15HIP_vector_typeIfLj2EEffffjfiS5_IjLj3EEiiiiiiiiiiiliiliiiiil,comdat
	.globl	_ZL15flash_attn_tileILi192ELi128ELi2ELi16ELb0EEvPKcS1_S1_S1_S1_PKiPfP15HIP_vector_typeIfLj2EEffffjfiS5_IjLj3EEiiiiiiiiiiiliiliiiiil ; -- Begin function _ZL15flash_attn_tileILi192ELi128ELi2ELi16ELb0EEvPKcS1_S1_S1_S1_PKiPfP15HIP_vector_typeIfLj2EEffffjfiS5_IjLj3EEiiiiiiiiiiiliiliiiiil
	.p2align	8
	.type	_ZL15flash_attn_tileILi192ELi128ELi2ELi16ELb0EEvPKcS1_S1_S1_S1_PKiPfP15HIP_vector_typeIfLj2EEffffjfiS5_IjLj3EEiiiiiiiiiiiliiliiiiil,@function
_ZL15flash_attn_tileILi192ELi128ELi2ELi16ELb0EEvPKcS1_S1_S1_S1_PKiPfP15HIP_vector_typeIfLj2EEffffjfiS5_IjLj3EEiiiiiiiiiiiliiliiiiil: ; @_ZL15flash_attn_tileILi192ELi128ELi2ELi16ELb0EEvPKcS1_S1_S1_S1_PKiPfP15HIP_vector_typeIfLj2EEffffjfiS5_IjLj3EEiiiiiiiiiiiliiliiiiil
; %bb.0:
	s_clause 0x1
	s_load_dwordx4 s[24:27], s[4:5], 0x5c
	s_load_dwordx2 s[30:31], s[4:5], 0x80
	s_mov_b32 s28, s7
	s_mov_b64 s[34:35], 0
	s_waitcnt lgkmcnt(0)
	s_ashr_i32 s0, s27, 31
	s_lshr_b32 s0, s0, 28
	s_add_i32 s0, s27, s0
	s_ashr_i32 s0, s0, 4
	v_cvt_f32_u32_e32 v2, s0
	s_sub_i32 s2, 0, s0
	v_rcp_iflag_f32_e32 v2, v2
	v_mul_f32_e32 v2, 0x4f7ffffe, v2
	v_cvt_u32_f32_e32 v2, v2
	v_readfirstlane_b32 s1, v2
	s_mul_i32 s2, s2, s1
	s_mul_hi_u32 s2, s1, s2
	s_add_i32 s1, s1, s2
	s_mul_hi_u32 s1, s8, s1
	s_mul_i32 s2, s1, s0
	s_add_i32 s3, s1, 1
	s_sub_i32 s2, s8, s2
	s_sub_i32 s7, s2, s0
	s_cmp_ge_u32 s2, s0
	s_cselect_b32 s1, s3, s1
	s_cselect_b32 s2, s7, s2
	s_add_i32 s3, s1, 1
	s_cmp_ge_u32 s2, s0
	s_cselect_b32 s29, s3, s1
	s_abs_i32 s0, s31
	s_lshl_b32 s3, s8, 4
	v_cvt_f32_u32_e32 v2, s0
	s_sub_i32 s2, 0, s0
	s_abs_i32 s8, s27
	s_mul_i32 s7, s29, s27
	v_rcp_iflag_f32_e32 v2, v2
	s_sub_i32 s33, s3, s7
	v_mul_f32_e32 v2, 0x4f7ffffe, v2
	v_cvt_u32_f32_e32 v2, v2
	v_readfirstlane_b32 s1, v2
	s_mul_i32 s2, s2, s1
	s_mul_hi_u32 s2, s1, s2
	s_add_i32 s1, s1, s2
	s_xor_b32 s2, s27, s31
	s_mul_hi_u32 s1, s8, s1
	s_ashr_i32 s2, s2, 31
	s_mul_i32 s3, s1, s0
	s_add_i32 s7, s1, 1
	s_sub_i32 s3, s8, s3
	s_sub_i32 s8, s3, s0
	s_cmp_ge_u32 s3, s0
	s_cselect_b32 s1, s7, s1
	s_cselect_b32 s3, s8, s3
	s_add_i32 s7, s1, 1
	s_cmp_ge_u32 s3, s0
	s_clause 0x1
	s_load_dwordx16 s[8:23], s[4:5], 0x0
	s_load_dwordx2 s[36:37], s[4:5], 0xb8
	s_cselect_b32 s0, s7, s1
	s_xor_b32 s0, s0, s2
	s_sub_i32 s31, s0, s2
	s_abs_i32 s7, s31
	v_cvt_f32_u32_e32 v2, s7
	v_rcp_iflag_f32_e32 v2, v2
	s_waitcnt lgkmcnt(0)
	s_cmp_eq_u64 s[14:15], 0
	v_mul_f32_e32 v2, 0x4f7ffffe, v2
	v_cvt_u32_f32_e32 v2, v2
	v_readfirstlane_b32 s38, v2
	s_cbranch_scc1 .LBB0_2
; %bb.1:
	s_abs_i32 s2, s36
	s_abs_i32 s3, s29
	v_cvt_f32_u32_e32 v2, s2
	s_sub_i32 s1, 0, s2
	v_rcp_iflag_f32_e32 v2, v2
	v_mul_f32_e32 v2, 0x4f7ffffe, v2
	v_cvt_u32_f32_e32 v2, v2
	v_readfirstlane_b32 s0, v2
	s_mul_i32 s1, s1, s0
	s_mul_hi_u32 s1, s0, s1
	s_add_i32 s0, s0, s1
	s_mul_hi_u32 s34, s3, s0
	s_load_dwordx2 s[0:1], s[4:5], 0xc8
	s_mul_i32 s34, s34, s2
	s_sub_i32 s3, s3, s34
	s_ashr_i32 s34, s29, 31
	s_sub_i32 s35, s3, s2
	s_cmp_ge_u32 s3, s2
	s_cselect_b32 s3, s35, s3
	s_sub_i32 s35, s3, s2
	s_cmp_ge_u32 s3, s2
	s_cselect_b32 s2, s35, s3
	s_xor_b32 s2, s2, s34
	s_sub_i32 s2, s2, s34
	s_ashr_i32 s3, s2, 31
	s_waitcnt lgkmcnt(0)
	s_mul_hi_u32 s34, s0, s2
	s_mul_i32 s3, s0, s3
	s_mul_i32 s1, s1, s2
	s_add_i32 s3, s34, s3
	s_mul_i32 s0, s0, s2
	s_add_i32 s3, s3, s1
	s_add_u32 s34, s14, s0
	s_addc_u32 s35, s15, s3
.LBB0_2:
	v_lshrrev_b32_e32 v2, 2, v1
	s_load_dwordx4 s[0:3], s[4:5], 0x70
	v_lshlrev_b32_e32 v6, 2, v1
	v_lshlrev_b32_e32 v5, 4, v0
	v_mul_u32_u24_e32 v29, 0x600, v1
	v_lshl_add_u32 v17, s6, 1, v2
	v_and_b32_e32 v27, 12, v6
	v_mul_hi_u32 v2, s24, v17
	v_add_nc_u32_e32 v2, v17, v2
	s_waitcnt lgkmcnt(0)
	s_mul_i32 s2, s29, s2
	s_mul_i32 s3, s33, s1
	v_lshrrev_b32_e32 v2, s25, v2
	s_ashr_i32 s15, s2, 31
	s_add_u32 s2, s8, s2
	s_addc_u32 s8, s9, s15
	s_ashr_i32 s9, s3, 31
	v_mul_lo_u32 v2, v2, s26
	s_add_u32 s24, s2, s3
	s_mov_b32 s14, s1
	s_addc_u32 s8, s8, s9
	s_ashr_i32 s15, s1, 31
	s_ashr_i32 s1, s0, 31
	s_lshr_b64 s[2:3], s[0:1], 2
	v_sub_nc_u32_e32 v4, v17, v2
	s_lshr_b32 s0, s1, 2
	s_load_dword s1, s[4:5], 0x40
	v_mad_u64_u32 v[2:3], null, s2, v4, 0
	s_lshr_b64 s[2:3], s[14:15], 2
	v_mad_u64_u32 v[7:8], null, s0, v4, v[3:4]
	v_mov_b32_e32 v3, v7
	v_mad_u64_u32 v[7:8], null, s2, v27, 0
	v_lshlrev_b64 v[2:3], 2, v[2:3]
	v_mad_i32_i24 v8, s15, v27, v8
	v_add_co_u32 v9, vcc_lo, s24, v2
	v_add_co_ci_u32_e64 v10, null, s8, v3, vcc_lo
	v_lshlrev_b64 v[2:3], 2, v[7:8]
	v_add_co_u32 v7, vcc_lo, v9, v5
	v_add_co_ci_u32_e64 v8, null, 0, v10, vcc_lo
	v_add_co_u32 v2, vcc_lo, v7, v2
	v_add_co_ci_u32_e64 v3, null, v8, v3, vcc_lo
	v_cmp_gt_u32_e32 vcc_lo, 16, v0
	global_load_dwordx4 v[9:12], v[2:3], off
	s_waitcnt vmcnt(0) lgkmcnt(0)
	v_fma_mixlo_f16 v5, s1, v10, 0
	v_fma_mixlo_f16 v9, s1, v9, 0
	;; [unrolled: 1-line block ×4, first 2 shown]
	v_lshlrev_b32_e32 v12, 16, v5
	v_and_b32_e32 v9, 0xffff, v9
	v_lshlrev_b32_e32 v5, 3, v0
	v_lshlrev_b32_e32 v11, 16, v11
	v_and_b32_e32 v10, 0xffff, v10
	v_or_b32_e32 v9, v12, v9
	v_mad_u32_u24 v12, 0x600, v1, v5
	v_or3_b32 v10, v11, v10, 0
	v_or3_b32 v9, 0, 0, v9
	ds_write_b64 v12, v[9:10]
	s_and_saveexec_b32 s0, vcc_lo
	s_cbranch_execz .LBB0_4
; %bb.3:
	global_load_dwordx4 v[9:12], v[2:3], off offset:512
	s_waitcnt vmcnt(0)
	v_fma_mixlo_f16 v2, s1, v10, 0
	v_fma_mixlo_f16 v3, s1, v9, 0
	;; [unrolled: 1-line block ×4, first 2 shown]
	v_lshlrev_b32_e32 v2, 16, v2
	v_and_b32_e32 v3, 0xffff, v3
	v_and_b32_e32 v9, 0xffff, v9
	v_lshlrev_b32_e32 v10, 16, v10
	v_or_b32_e32 v2, v2, v3
	v_or3_b32 v3, v10, v9, 0
	v_add_nc_u32_e32 v9, v5, v29
	v_or3_b32 v2, 0, 0, v2
	ds_write_b64 v9, v[2:3] offset:256
.LBB0_4:
	s_or_b32 exec_lo, exec_lo, s0
	v_or_b32_e32 v13, 1, v6
	v_and_b32_e32 v9, 13, v13
	v_mul_u32_u24_e32 v14, 0x180, v13
	v_mad_u32_u24 v13, 0x180, v13, v5
	v_mad_u64_u32 v[2:3], null, s2, v9, 0
	v_mad_u64_u32 v[9:10], null, s3, v9, v[3:4]
	v_mov_b32_e32 v3, v9
	v_lshlrev_b64 v[2:3], 2, v[2:3]
	v_add_co_u32 v2, s0, v7, v2
	v_add_co_ci_u32_e64 v3, null, v8, v3, s0
	global_load_dwordx4 v[9:12], v[2:3], off
	s_waitcnt vmcnt(0)
	v_fma_mixlo_f16 v10, s1, v10, 0
	v_fma_mixlo_f16 v9, s1, v9, 0
	;; [unrolled: 1-line block ×4, first 2 shown]
	v_lshlrev_b32_e32 v10, 16, v10
	v_and_b32_e32 v9, 0xffff, v9
	v_and_b32_e32 v11, 0xffff, v11
	v_lshlrev_b32_e32 v12, 16, v12
	v_or_b32_e32 v9, v10, v9
	v_or3_b32 v11, v12, v11, 0
	v_or3_b32 v10, 0, 0, v9
	v_add_nc_u32_e32 v9, v5, v14
	ds_write_b64 v13, v[10:11]
	s_and_saveexec_b32 s0, vcc_lo
	s_cbranch_execz .LBB0_6
; %bb.5:
	global_load_dwordx4 v[10:13], v[2:3], off offset:512
	s_waitcnt vmcnt(0)
	v_fma_mixlo_f16 v2, s1, v11, 0
	v_fma_mixlo_f16 v3, s1, v10, 0
	;; [unrolled: 1-line block ×4, first 2 shown]
	v_lshlrev_b32_e32 v2, 16, v2
	v_and_b32_e32 v3, 0xffff, v3
	v_and_b32_e32 v10, 0xffff, v10
	v_lshlrev_b32_e32 v11, 16, v11
	v_or_b32_e32 v2, v2, v3
	v_or3_b32 v3, v11, v10, 0
	v_or3_b32 v2, 0, 0, v2
	ds_write_b64 v9, v[2:3] offset:256
.LBB0_6:
	s_or_b32 exec_lo, exec_lo, s0
	v_or_b32_e32 v2, 2, v6
	v_and_b32_e32 v10, 14, v2
	v_mad_u64_u32 v[2:3], null, s2, v10, 0
	v_mad_u64_u32 v[10:11], null, s3, v10, v[3:4]
	v_mov_b32_e32 v3, v10
	v_lshlrev_b64 v[2:3], 2, v[2:3]
	v_add_co_u32 v2, s0, v7, v2
	v_add_co_ci_u32_e64 v3, null, v8, v3, s0
	global_load_dwordx4 v[10:13], v[2:3], off
	s_waitcnt vmcnt(0)
	v_fma_mixlo_f16 v11, s1, v11, 0
	v_fma_mixlo_f16 v10, s1, v10, 0
	;; [unrolled: 1-line block ×4, first 2 shown]
	v_lshlrev_b32_e32 v11, 16, v11
	v_and_b32_e32 v10, 0xffff, v10
	v_and_b32_e32 v12, 0xffff, v12
	v_lshlrev_b32_e32 v13, 16, v13
	v_or_b32_e32 v10, v11, v10
	v_or3_b32 v11, v13, v12, 0
	v_or3_b32 v10, 0, 0, v10
	ds_write_b64 v9, v[10:11] offset:384
	s_and_saveexec_b32 s0, vcc_lo
	s_cbranch_execz .LBB0_8
; %bb.7:
	global_load_dwordx4 v[10:13], v[2:3], off offset:512
	s_waitcnt vmcnt(0)
	v_fma_mixlo_f16 v2, s1, v11, 0
	v_fma_mixlo_f16 v3, s1, v10, 0
	;; [unrolled: 1-line block ×4, first 2 shown]
	v_lshlrev_b32_e32 v2, 16, v2
	v_and_b32_e32 v3, 0xffff, v3
	v_and_b32_e32 v10, 0xffff, v10
	v_lshlrev_b32_e32 v11, 16, v11
	v_or_b32_e32 v2, v2, v3
	v_or3_b32 v3, v11, v10, 0
	v_or3_b32 v2, 0, 0, v2
	ds_write_b64 v9, v[2:3] offset:640
.LBB0_8:
	s_or_b32 exec_lo, exec_lo, s0
	v_or_b32_e32 v2, 3, v6
	v_and_b32_e32 v10, 15, v2
	v_mad_u64_u32 v[2:3], null, s2, v10, 0
	v_mad_u64_u32 v[10:11], null, s3, v10, v[3:4]
	v_mov_b32_e32 v3, v10
	v_lshlrev_b64 v[2:3], 2, v[2:3]
	v_add_co_u32 v2, s0, v7, v2
	v_add_co_ci_u32_e64 v3, null, v8, v3, s0
	global_load_dwordx4 v[10:13], v[2:3], off
	s_waitcnt vmcnt(0)
	v_fma_mixlo_f16 v7, s1, v11, 0
	v_fma_mixlo_f16 v8, s1, v10, 0
	;; [unrolled: 1-line block ×4, first 2 shown]
	v_lshlrev_b32_e32 v7, 16, v7
	v_and_b32_e32 v8, 0xffff, v8
	v_and_b32_e32 v10, 0xffff, v10
	v_lshlrev_b32_e32 v11, 16, v11
	v_or_b32_e32 v7, v7, v8
	v_or3_b32 v8, v11, v10, 0
	v_or3_b32 v7, 0, 0, v7
	ds_write_b64 v9, v[7:8] offset:768
	s_and_saveexec_b32 s0, vcc_lo
	s_cbranch_execz .LBB0_10
; %bb.9:
	global_load_dwordx4 v[10:13], v[2:3], off offset:512
	s_waitcnt vmcnt(0)
	v_fma_mixlo_f16 v2, s1, v11, 0
	v_fma_mixlo_f16 v3, s1, v10, 0
	v_fma_mixlo_f16 v7, s1, v12, 0
	v_fma_mixlo_f16 v8, s1, v13, 0
	v_lshlrev_b32_e32 v2, 16, v2
	v_and_b32_e32 v3, 0xffff, v3
	v_and_b32_e32 v7, 0xffff, v7
	v_lshlrev_b32_e32 v8, 16, v8
	v_or_b32_e32 v2, v2, v3
	v_or3_b32 v3, v8, v7, 0
	v_or3_b32 v2, 0, 0, v2
	ds_write_b64 v9, v[2:3] offset:1024
.LBB0_10:
	s_or_b32 exec_lo, exec_lo, s0
	s_cmp_eq_u64 s[18:19], 0
	s_waitcnt lgkmcnt(0)
	s_barrier
	buffer_gl0_inv
	s_cbranch_scc1 .LBB0_12
; %bb.11:
	s_load_dword s0, s[4:5], 0xd0
	s_mov_b32 s1, 0
	s_waitcnt lgkmcnt(0)
	s_mul_i32 s0, s0, s29
	s_add_i32 s0, s0, s6
	s_lshl_b64 s[0:1], s[0:1], 2
	s_add_u32 s0, s18, s0
	s_addc_u32 s1, s19, s1
	s_load_dword s30, s[0:1], 0x0
.LBB0_12:
	v_mbcnt_lo_u32_b32 v30, -1, 0
	s_lshl_b32 s9, s28, 6
	s_waitcnt lgkmcnt(0)
	s_cmp_lt_i32 s9, s30
	s_cbranch_scc1 .LBB0_15
; %bb.13:
	v_mbcnt_lo_u32_b32 v8, -1, 0
	v_mov_b32_e32 v7, 32
	v_xor_b32_e32 v35, 16, v8
	v_xor_b32_e32 v34, 8, v8
	v_xor_b32_e32 v33, 4, v8
	v_xor_b32_e32 v32, 2, v8
	v_xor_b32_e32 v31, 1, v8
	v_lshlrev_b32_e32 v28, 2, v0
	s_cbranch_execz .LBB0_16
; %bb.14:
	v_mov_b32_e32 v60, 0
	v_mov_b32_e32 v36, 0
	;; [unrolled: 1-line block ×16, first 2 shown]
	s_branch .LBB0_19
.LBB0_15:
                                        ; implicit-def: $vgpr8
                                        ; implicit-def: $vgpr7
                                        ; implicit-def: $vgpr35
                                        ; implicit-def: $vgpr34
                                        ; implicit-def: $vgpr33
                                        ; implicit-def: $vgpr32
                                        ; implicit-def: $vgpr31
	v_lshlrev_b32_e32 v28, 2, v0
.LBB0_16:
	s_clause 0x1
	s_load_dwordx4 s[0:3], s[4:5], 0x98
	s_load_dwordx2 s[18:19], s[4:5], 0x8c
	s_sub_i32 s6, 0, s7
	s_abs_i32 s8, s33
	s_mul_i32 s6, s6, s38
	s_ashr_i32 s36, s33, 31
	s_mul_hi_u32 s6, s38, s6
	s_ashr_i32 s31, s31, 31
	s_add_i32 s38, s38, s6
	s_ashr_i32 s6, s37, 1
	s_mul_hi_u32 s37, s8, s38
	s_ashr_i32 s38, s29, 31
	s_load_dwordx2 s[24:25], s[4:5], 0xa8
	s_mul_i32 s39, s37, s7
	v_lshrrev_b32_e32 v2, 3, v0
	v_lshrrev_b32_e32 v7, 4, v0
	v_and_b32_e32 v12, 28, v28
	v_and_b32_e32 v13, 60, v28
	v_lshl_add_u32 v43, v1, 9, 0x5400
	v_add_nc_u32_e32 v3, v2, v6
	s_waitcnt lgkmcnt(0)
	s_ashr_i32 s14, s2, 2
	s_ashr_i32 s15, s18, 2
	s_mul_hi_u32 s2, s0, s29
	s_mul_i32 s18, s0, s38
	s_mul_i32 s1, s1, s29
	s_add_i32 s2, s2, s18
	s_mul_i32 s0, s0, s29
	s_add_i32 s2, s2, s1
	s_add_u32 s0, s10, s0
	s_addc_u32 s1, s11, s2
	s_sub_i32 s8, s8, s39
	s_xor_b32 s2, s36, s31
	s_add_i32 s10, s37, 1
	s_sub_i32 s11, s8, s7
	s_cmp_ge_u32 s8, s7
	v_lshl_add_u32 v10, v1, 1, v7
	s_cselect_b32 s10, s10, s37
	s_cselect_b32 s8, s11, s8
	s_add_i32 s11, s10, 1
	s_cmp_ge_u32 s8, s7
	v_mul_lo_u32 v2, s15, v3
	v_mul_lo_u32 v8, s14, v10
	s_cselect_b32 s7, s11, s10
	v_lshlrev_b32_e32 v6, 2, v12
	v_lshlrev_b32_e32 v11, 2, v13
	s_xor_b32 s7, s7, s2
	s_mul_hi_u32 s8, s24, s29
	s_sub_i32 s2, s7, s2
	v_mad_u32_u24 v9, 0x90, v3, v6
	s_mul_i32 s10, s2, s19
	v_lshl_add_u32 v6, s15, 5, v2
	v_lshl_or_b32 v11, v10, 8, v11
	v_lshl_add_u32 v10, s14, 4, v8
	s_mul_i32 s7, s24, s38
	s_ashr_i32 s19, s10, 31
	s_add_u32 s18, s0, s10
	s_mul_i32 s11, s25, s29
	s_addc_u32 s19, s1, s19
	s_add_i32 s0, s8, s7
	s_mul_i32 s1, s24, s29
	v_add_nc_u32_e32 v40, 0x3000, v9
	v_ashrrev_i32_e32 v3, 31, v2
	v_add_nc_u32_e32 v41, 0x4200, v9
	v_ashrrev_i32_e32 v7, 31, v6
	;; [unrolled: 2-line block ×4, first 2 shown]
	s_add_i32 s0, s0, s11
	s_mul_i32 s2, s2, s3
	s_add_u32 s1, s12, s1
	s_addc_u32 s0, s13, s0
	s_ashr_i32 s3, s2, 31
	v_mad_u64_u32 v[18:19], null, v4, s6, v[0:1]
	s_add_u32 s12, s1, s2
	s_movk_i32 s1, 0x3000
	v_lshlrev_b64 v[19:20], 2, v[2:3]
	v_lshlrev_b64 v[21:22], 2, v[6:7]
	;; [unrolled: 1-line block ×4, first 2 shown]
	v_mov_b32_e32 v54, 0
	v_mad_u32_u24 v42, 0x90, v0, s1
	v_mov_b32_e32 v1, 0xfeffffff
	v_lshlrev_b32_e32 v46, 2, v12
	v_xor_b32_e32 v35, 16, v30
	v_xor_b32_e32 v34, 8, v30
	;; [unrolled: 1-line block ×5, first 2 shown]
	v_add_nc_u32_e32 v47, v43, v5
	v_lshlrev_b32_e32 v48, 2, v13
	v_mov_b32_e32 v49, 0x10001
	v_add_nc_u32_e32 v50, 0x3000, v5
	v_add_nc_u32_e32 v51, 0x3800, v5
	;; [unrolled: 1-line block ×4, first 2 shown]
	v_mov_b32_e32 v55, 0
	v_mov_b32_e32 v56, 0
	v_mov_b32_e32 v57, 0
	v_mov_b32_e32 v58, 0
	v_mov_b32_e32 v59, 0
	v_mov_b32_e32 v61, 0
	v_mov_b32_e32 v60, 0
	v_mov_b32_e32 v2, 0xfeffffff
	v_mov_b32_e32 v3, 0xfeffffff
	v_mov_b32_e32 v4, 0xfeffffff
	v_mov_b32_e32 v39, 0
	v_mov_b32_e32 v38, 0
	v_mov_b32_e32 v37, 0
	v_mov_b32_e32 v36, 0
	s_addc_u32 s13, s0, s3
	s_add_u32 s10, s4, 0xd0
	s_addc_u32 s11, s5, 0
.LBB0_17:                               ; =>This Inner Loop Header: Depth=1
	v_cmp_gt_i32_e32 vcc_lo, 32, v35
	v_mov_b32_e32 v63, v3
	v_mov_b32_e32 v62, v4
	s_mul_hi_i32 s1, s9, s15
	s_mul_i32 s0, s9, s15
	v_cndmask_b32_e32 v3, v30, v35, vcc_lo
	v_cmp_gt_i32_e32 vcc_lo, 32, v34
	s_lshl_b64 s[0:1], s[0:1], 2
	v_mov_b32_e32 v65, v1
	v_add_nc_u32_e32 v1, s9, v18
	s_mul_hi_i32 s3, s9, s14
	v_cndmask_b32_e32 v4, v30, v34, vcc_lo
	v_cmp_gt_i32_e32 vcc_lo, 32, v33
	s_mul_i32 s2, s9, s14
	s_add_u32 s0, s18, s0
	s_addc_u32 s1, s19, s1
	s_lshl_b64 s[2:3], s[2:3], 2
	v_cndmask_b32_e32 v5, v30, v33, vcc_lo
	v_cmp_gt_i32_e32 vcc_lo, 32, v32
	v_lshlrev_b32_e32 v72, 2, v3
	v_lshlrev_b32_e32 v71, 2, v4
	v_mov_b32_e32 v64, v2
	v_ashrrev_i32_e32 v2, 31, v1
	v_cndmask_b32_e32 v6, v30, v32, vcc_lo
	v_cmp_gt_i32_e32 vcc_lo, 32, v31
	v_lshlrev_b32_e32 v70, 2, v5
	v_mov_b32_e32 v11, 0
	v_mov_b32_e32 v12, 0
	v_lshlrev_b32_e32 v69, 2, v6
	v_cndmask_b32_e32 v7, v30, v31, vcc_lo
	v_add_co_u32 v3, vcc_lo, s0, v21
	v_add_co_u32 v4, s0, s0, v19
	v_add_co_ci_u32_e64 v8, null, s1, v20, s0
	s_add_u32 s0, s12, s2
	v_add_co_ci_u32_e64 v73, null, s1, v22, vcc_lo
	s_addc_u32 s1, s13, s3
	v_add_co_u32 v74, vcc_lo, s0, v23
	v_add_co_u32 v75, s0, s0, v25
	v_add_co_ci_u32_e64 v76, null, s1, v26, s0
	v_add_co_u32 v9, s0, v4, v46
	v_lshlrev_b32_e32 v68, 2, v7
	v_lshlrev_b64 v[5:6], 1, v[1:2]
	v_add_co_ci_u32_e64 v2, null, s1, v24, vcc_lo
	v_add_co_u32 v7, vcc_lo, v3, v46
	v_add_co_ci_u32_e64 v10, null, 0, v8, s0
	v_add_co_ci_u32_e64 v8, null, 0, v73, vcc_lo
	v_add_co_u32 v1, vcc_lo, v75, v48
	v_add_co_u32 v3, s0, v74, v48
	v_add_co_ci_u32_e64 v4, null, 0, v2, s0
	v_add_co_ci_u32_e64 v2, null, 0, v76, vcc_lo
	s_clause 0x1
	global_load_dwordx4 v[73:76], v[9:10], off
	global_load_dwordx4 v[77:80], v[7:8], off
	v_mov_b32_e32 v13, 0
	v_mov_b32_e32 v14, 0
	;; [unrolled: 1-line block ×6, first 2 shown]
	v_add_co_u32 v5, vcc_lo, s34, v5
	v_add_co_ci_u32_e64 v6, null, s35, v6, vcc_lo
	s_waitcnt vmcnt(1)
	ds_write_b128 v40, v[73:76]
	s_waitcnt vmcnt(0)
	ds_write_b128 v41, v[77:80]
	s_waitcnt lgkmcnt(0)
	s_barrier
	buffer_gl0_inv
	ds_read_b128 v[73:76], v42
	ds_read_b128 v[77:80], v29
	ds_read_b128 v[81:84], v29 offset:384
	ds_read_b128 v[85:88], v29 offset:768
	;; [unrolled: 1-line block ×4, first 2 shown]
	s_waitcnt lgkmcnt(4)
	;;#ASMSTART
	v_dot2_f32_f16 v11, v73, v77, v11
	;;#ASMEND
	;;#ASMSTART
	v_dot2_f32_f16 v11, v74, v78, v11
	;;#ASMEND
	;;#ASMSTART
	v_dot2_f32_f16 v11, v75, v79, v11
	;;#ASMEND
	;;#ASMSTART
	v_dot2_f32_f16 v11, v76, v80, v11
	;;#ASMEND
	s_waitcnt lgkmcnt(3)
	;;#ASMSTART
	v_dot2_f32_f16 v12, v73, v81, v12
	;;#ASMEND
	;;#ASMSTART
	v_dot2_f32_f16 v12, v74, v82, v12
	;;#ASMEND
	;;#ASMSTART
	v_dot2_f32_f16 v12, v75, v83, v12
	;;#ASMEND
	;;#ASMSTART
	v_dot2_f32_f16 v12, v76, v84, v12
	;;#ASMEND
	;; [unrolled: 13-line block ×5, first 2 shown]
	;;#ASMSTART
	v_dot2_f32_f16 v16, v93, v81, v16
	;;#ASMEND
	;;#ASMSTART
	v_dot2_f32_f16 v16, v94, v82, v16
	;;#ASMEND
	;; [unrolled: 3-line block ×12, first 2 shown]
	ds_read_b128 v[73:76], v42 offset:16
	ds_read_b128 v[77:80], v29 offset:16
	;; [unrolled: 1-line block ×6, first 2 shown]
	s_waitcnt lgkmcnt(4)
	;;#ASMSTART
	v_dot2_f32_f16 v11, v73, v77, v11
	;;#ASMEND
	;;#ASMSTART
	v_dot2_f32_f16 v11, v74, v78, v11
	;;#ASMEND
	;;#ASMSTART
	v_dot2_f32_f16 v11, v75, v79, v11
	;;#ASMEND
	;;#ASMSTART
	v_dot2_f32_f16 v11, v76, v80, v11
	;;#ASMEND
	s_waitcnt lgkmcnt(3)
	;;#ASMSTART
	v_dot2_f32_f16 v12, v73, v81, v12
	;;#ASMEND
	;;#ASMSTART
	v_dot2_f32_f16 v12, v74, v82, v12
	;;#ASMEND
	;;#ASMSTART
	v_dot2_f32_f16 v12, v75, v83, v12
	;;#ASMEND
	;;#ASMSTART
	v_dot2_f32_f16 v12, v76, v84, v12
	;;#ASMEND
	;; [unrolled: 13-line block ×5, first 2 shown]
	;;#ASMSTART
	v_dot2_f32_f16 v16, v93, v81, v16
	;;#ASMEND
	;;#ASMSTART
	v_dot2_f32_f16 v16, v94, v82, v16
	;;#ASMEND
	;; [unrolled: 3-line block ×12, first 2 shown]
	ds_read_b128 v[73:76], v42 offset:32
	ds_read_b128 v[77:80], v29 offset:32
	;; [unrolled: 1-line block ×6, first 2 shown]
	s_waitcnt lgkmcnt(4)
	;;#ASMSTART
	v_dot2_f32_f16 v11, v73, v77, v11
	;;#ASMEND
	;;#ASMSTART
	v_dot2_f32_f16 v11, v74, v78, v11
	;;#ASMEND
	;;#ASMSTART
	v_dot2_f32_f16 v11, v75, v79, v11
	;;#ASMEND
	;;#ASMSTART
	v_dot2_f32_f16 v11, v76, v80, v11
	;;#ASMEND
	s_waitcnt lgkmcnt(3)
	;;#ASMSTART
	v_dot2_f32_f16 v12, v73, v81, v12
	;;#ASMEND
	;;#ASMSTART
	v_dot2_f32_f16 v12, v74, v82, v12
	;;#ASMEND
	;;#ASMSTART
	v_dot2_f32_f16 v12, v75, v83, v12
	;;#ASMEND
	;;#ASMSTART
	v_dot2_f32_f16 v12, v76, v84, v12
	;;#ASMEND
	;; [unrolled: 13-line block ×5, first 2 shown]
	;;#ASMSTART
	v_dot2_f32_f16 v16, v93, v81, v16
	;;#ASMEND
	;;#ASMSTART
	v_dot2_f32_f16 v16, v94, v82, v16
	;;#ASMEND
	;; [unrolled: 3-line block ×12, first 2 shown]
	ds_read_b128 v[73:76], v42 offset:48
	ds_read_b128 v[77:80], v29 offset:48
	ds_read_b128 v[81:84], v29 offset:432
	ds_read_b128 v[85:88], v29 offset:816
	ds_read_b128 v[89:92], v29 offset:1200
	ds_read_b128 v[93:96], v42 offset:4656
	s_waitcnt lgkmcnt(4)
	;;#ASMSTART
	v_dot2_f32_f16 v11, v73, v77, v11
	;;#ASMEND
	;;#ASMSTART
	v_dot2_f32_f16 v11, v74, v78, v11
	;;#ASMEND
	;;#ASMSTART
	v_dot2_f32_f16 v11, v75, v79, v11
	;;#ASMEND
	;;#ASMSTART
	v_dot2_f32_f16 v11, v76, v80, v11
	;;#ASMEND
	s_waitcnt lgkmcnt(3)
	;;#ASMSTART
	v_dot2_f32_f16 v12, v73, v81, v12
	;;#ASMEND
	;;#ASMSTART
	v_dot2_f32_f16 v12, v74, v82, v12
	;;#ASMEND
	;;#ASMSTART
	v_dot2_f32_f16 v12, v75, v83, v12
	;;#ASMEND
	;;#ASMSTART
	v_dot2_f32_f16 v12, v76, v84, v12
	;;#ASMEND
	;; [unrolled: 13-line block ×5, first 2 shown]
	;;#ASMSTART
	v_dot2_f32_f16 v16, v93, v81, v16
	;;#ASMEND
	;;#ASMSTART
	v_dot2_f32_f16 v16, v94, v82, v16
	;;#ASMEND
	;; [unrolled: 3-line block ×12, first 2 shown]
	ds_read_b128 v[73:76], v42 offset:64
	ds_read_b128 v[77:80], v29 offset:64
	;; [unrolled: 1-line block ×6, first 2 shown]
	s_waitcnt lgkmcnt(4)
	;;#ASMSTART
	v_dot2_f32_f16 v11, v73, v77, v11
	;;#ASMEND
	;;#ASMSTART
	v_dot2_f32_f16 v11, v74, v78, v11
	;;#ASMEND
	;;#ASMSTART
	v_dot2_f32_f16 v11, v75, v79, v11
	;;#ASMEND
	;;#ASMSTART
	v_dot2_f32_f16 v11, v76, v80, v11
	;;#ASMEND
	s_waitcnt lgkmcnt(3)
	;;#ASMSTART
	v_dot2_f32_f16 v12, v73, v81, v12
	;;#ASMEND
	;;#ASMSTART
	v_dot2_f32_f16 v12, v74, v82, v12
	;;#ASMEND
	;;#ASMSTART
	v_dot2_f32_f16 v12, v75, v83, v12
	;;#ASMEND
	;;#ASMSTART
	v_dot2_f32_f16 v12, v76, v84, v12
	;;#ASMEND
	;; [unrolled: 13-line block ×5, first 2 shown]
	;;#ASMSTART
	v_dot2_f32_f16 v16, v93, v81, v16
	;;#ASMEND
	;;#ASMSTART
	v_dot2_f32_f16 v16, v94, v82, v16
	;;#ASMEND
	;;#ASMSTART
	v_dot2_f32_f16 v16, v95, v83, v16
	;;#ASMEND
	;;#ASMSTART
	v_dot2_f32_f16 v16, v96, v84, v16
	;;#ASMEND
	;;#ASMSTART
	v_dot2_f32_f16 v66, v93, v85, v66
	;;#ASMEND
	;;#ASMSTART
	v_dot2_f32_f16 v66, v94, v86, v66
	;;#ASMEND
	;;#ASMSTART
	v_dot2_f32_f16 v66, v95, v87, v66
	;;#ASMEND
	;;#ASMSTART
	v_dot2_f32_f16 v66, v96, v88, v66
	;;#ASMEND
	;;#ASMSTART
	v_dot2_f32_f16 v67, v93, v89, v67
	;;#ASMEND
	;;#ASMSTART
	v_dot2_f32_f16 v67, v94, v90, v67
	;;#ASMEND
	;;#ASMSTART
	v_dot2_f32_f16 v67, v95, v91, v67
	;;#ASMEND
	;;#ASMSTART
	v_dot2_f32_f16 v67, v96, v92, v67
	;;#ASMEND
	ds_read_b128 v[73:76], v42 offset:80
	ds_read_b128 v[77:80], v29 offset:80
	;; [unrolled: 1-line block ×6, first 2 shown]
	s_waitcnt lgkmcnt(4)
	;;#ASMSTART
	v_dot2_f32_f16 v11, v73, v77, v11
	;;#ASMEND
	;;#ASMSTART
	v_dot2_f32_f16 v11, v74, v78, v11
	;;#ASMEND
	;;#ASMSTART
	v_dot2_f32_f16 v11, v75, v79, v11
	;;#ASMEND
	;;#ASMSTART
	v_dot2_f32_f16 v11, v76, v80, v11
	;;#ASMEND
	s_waitcnt lgkmcnt(3)
	;;#ASMSTART
	v_dot2_f32_f16 v12, v73, v81, v12
	;;#ASMEND
	;;#ASMSTART
	v_dot2_f32_f16 v12, v74, v82, v12
	;;#ASMEND
	;;#ASMSTART
	v_dot2_f32_f16 v12, v75, v83, v12
	;;#ASMEND
	;;#ASMSTART
	v_dot2_f32_f16 v12, v76, v84, v12
	;;#ASMEND
	;; [unrolled: 13-line block ×5, first 2 shown]
	;;#ASMSTART
	v_dot2_f32_f16 v16, v93, v81, v16
	;;#ASMEND
	;;#ASMSTART
	v_dot2_f32_f16 v16, v94, v82, v16
	;;#ASMEND
	;; [unrolled: 3-line block ×12, first 2 shown]
	ds_read_b128 v[73:76], v42 offset:96
	ds_read_b128 v[77:80], v29 offset:96
	;; [unrolled: 1-line block ×6, first 2 shown]
	s_waitcnt lgkmcnt(4)
	;;#ASMSTART
	v_dot2_f32_f16 v11, v73, v77, v11
	;;#ASMEND
	;;#ASMSTART
	v_dot2_f32_f16 v11, v74, v78, v11
	;;#ASMEND
	;;#ASMSTART
	v_dot2_f32_f16 v11, v75, v79, v11
	;;#ASMEND
	;;#ASMSTART
	v_dot2_f32_f16 v11, v76, v80, v11
	;;#ASMEND
	s_waitcnt lgkmcnt(3)
	;;#ASMSTART
	v_dot2_f32_f16 v12, v73, v81, v12
	;;#ASMEND
	;;#ASMSTART
	v_dot2_f32_f16 v12, v74, v82, v12
	;;#ASMEND
	;;#ASMSTART
	v_dot2_f32_f16 v12, v75, v83, v12
	;;#ASMEND
	;;#ASMSTART
	v_dot2_f32_f16 v12, v76, v84, v12
	;;#ASMEND
	;; [unrolled: 13-line block ×5, first 2 shown]
	;;#ASMSTART
	v_dot2_f32_f16 v16, v93, v81, v16
	;;#ASMEND
	;;#ASMSTART
	v_dot2_f32_f16 v16, v94, v82, v16
	;;#ASMEND
	;; [unrolled: 3-line block ×12, first 2 shown]
	ds_read_b128 v[73:76], v42 offset:112
	ds_read_b128 v[77:80], v29 offset:112
	;; [unrolled: 1-line block ×6, first 2 shown]
	s_waitcnt lgkmcnt(4)
	;;#ASMSTART
	v_dot2_f32_f16 v11, v73, v77, v11
	;;#ASMEND
	;;#ASMSTART
	v_dot2_f32_f16 v11, v74, v78, v11
	;;#ASMEND
	;;#ASMSTART
	v_dot2_f32_f16 v11, v75, v79, v11
	;;#ASMEND
	;;#ASMSTART
	v_dot2_f32_f16 v11, v76, v80, v11
	;;#ASMEND
	s_waitcnt lgkmcnt(3)
	;;#ASMSTART
	v_dot2_f32_f16 v12, v73, v81, v12
	;;#ASMEND
	;;#ASMSTART
	v_dot2_f32_f16 v12, v74, v82, v12
	;;#ASMEND
	;;#ASMSTART
	v_dot2_f32_f16 v12, v75, v83, v12
	;;#ASMEND
	;;#ASMSTART
	v_dot2_f32_f16 v12, v76, v84, v12
	;;#ASMEND
	;; [unrolled: 13-line block ×5, first 2 shown]
	;;#ASMSTART
	v_dot2_f32_f16 v16, v93, v81, v16
	;;#ASMEND
	;;#ASMSTART
	v_dot2_f32_f16 v16, v94, v82, v16
	;;#ASMEND
	;; [unrolled: 3-line block ×12, first 2 shown]
	s_barrier
	buffer_gl0_inv
	s_clause 0x1
	global_load_dwordx4 v[73:76], v[9:10], off offset:128
	global_load_dwordx4 v[77:80], v[7:8], off offset:128
	s_waitcnt vmcnt(1)
	ds_write_b128 v40, v[73:76]
	s_waitcnt vmcnt(0)
	ds_write_b128 v41, v[77:80]
	s_waitcnt lgkmcnt(0)
	s_barrier
	buffer_gl0_inv
	ds_read_b128 v[73:76], v42
	ds_read_b128 v[77:80], v29 offset:128
	ds_read_b128 v[81:84], v29 offset:512
	;; [unrolled: 1-line block ×5, first 2 shown]
	s_waitcnt lgkmcnt(4)
	;;#ASMSTART
	v_dot2_f32_f16 v11, v73, v77, v11
	;;#ASMEND
	;;#ASMSTART
	v_dot2_f32_f16 v11, v74, v78, v11
	;;#ASMEND
	;;#ASMSTART
	v_dot2_f32_f16 v11, v75, v79, v11
	;;#ASMEND
	;;#ASMSTART
	v_dot2_f32_f16 v11, v76, v80, v11
	;;#ASMEND
	s_waitcnt lgkmcnt(3)
	;;#ASMSTART
	v_dot2_f32_f16 v12, v73, v81, v12
	;;#ASMEND
	;;#ASMSTART
	v_dot2_f32_f16 v12, v74, v82, v12
	;;#ASMEND
	;;#ASMSTART
	v_dot2_f32_f16 v12, v75, v83, v12
	;;#ASMEND
	;;#ASMSTART
	v_dot2_f32_f16 v12, v76, v84, v12
	;;#ASMEND
	;; [unrolled: 13-line block ×5, first 2 shown]
	;;#ASMSTART
	v_dot2_f32_f16 v16, v93, v81, v16
	;;#ASMEND
	;;#ASMSTART
	v_dot2_f32_f16 v16, v94, v82, v16
	;;#ASMEND
	;; [unrolled: 3-line block ×12, first 2 shown]
	ds_read_b128 v[73:76], v42 offset:16
	ds_read_b128 v[77:80], v29 offset:144
	;; [unrolled: 1-line block ×6, first 2 shown]
	s_waitcnt lgkmcnt(4)
	;;#ASMSTART
	v_dot2_f32_f16 v11, v73, v77, v11
	;;#ASMEND
	;;#ASMSTART
	v_dot2_f32_f16 v11, v74, v78, v11
	;;#ASMEND
	;;#ASMSTART
	v_dot2_f32_f16 v11, v75, v79, v11
	;;#ASMEND
	;;#ASMSTART
	v_dot2_f32_f16 v11, v76, v80, v11
	;;#ASMEND
	s_waitcnt lgkmcnt(3)
	;;#ASMSTART
	v_dot2_f32_f16 v12, v73, v81, v12
	;;#ASMEND
	;;#ASMSTART
	v_dot2_f32_f16 v12, v74, v82, v12
	;;#ASMEND
	;;#ASMSTART
	v_dot2_f32_f16 v12, v75, v83, v12
	;;#ASMEND
	;;#ASMSTART
	v_dot2_f32_f16 v12, v76, v84, v12
	;;#ASMEND
	s_waitcnt lgkmcnt(2)
	;;#ASMSTART
	v_dot2_f32_f16 v13, v73, v85, v13
	;;#ASMEND
	;;#ASMSTART
	v_dot2_f32_f16 v13, v74, v86, v13
	;;#ASMEND
	;;#ASMSTART
	v_dot2_f32_f16 v13, v75, v87, v13
	;;#ASMEND
	;;#ASMSTART
	v_dot2_f32_f16 v13, v76, v88, v13
	;;#ASMEND
	s_waitcnt lgkmcnt(1)
	;;#ASMSTART
	v_dot2_f32_f16 v14, v73, v89, v14
	;;#ASMEND
	;;#ASMSTART
	v_dot2_f32_f16 v14, v74, v90, v14
	;;#ASMEND
	;;#ASMSTART
	v_dot2_f32_f16 v14, v75, v91, v14
	;;#ASMEND
	;;#ASMSTART
	v_dot2_f32_f16 v14, v76, v92, v14
	;;#ASMEND
	s_waitcnt lgkmcnt(0)
	;;#ASMSTART
	v_dot2_f32_f16 v15, v93, v77, v15
	;;#ASMEND
	;;#ASMSTART
	v_dot2_f32_f16 v15, v94, v78, v15
	;;#ASMEND
	;;#ASMSTART
	v_dot2_f32_f16 v15, v95, v79, v15
	;;#ASMEND
	;;#ASMSTART
	v_dot2_f32_f16 v15, v96, v80, v15
	;;#ASMEND
	;;#ASMSTART
	v_dot2_f32_f16 v16, v93, v81, v16
	;;#ASMEND
	;;#ASMSTART
	v_dot2_f32_f16 v16, v94, v82, v16
	;;#ASMEND
	;; [unrolled: 3-line block ×12, first 2 shown]
	ds_read_b128 v[73:76], v42 offset:32
	ds_read_b128 v[77:80], v29 offset:160
	;; [unrolled: 1-line block ×6, first 2 shown]
	s_waitcnt lgkmcnt(4)
	;;#ASMSTART
	v_dot2_f32_f16 v11, v73, v77, v11
	;;#ASMEND
	;;#ASMSTART
	v_dot2_f32_f16 v11, v74, v78, v11
	;;#ASMEND
	;;#ASMSTART
	v_dot2_f32_f16 v11, v75, v79, v11
	;;#ASMEND
	;;#ASMSTART
	v_dot2_f32_f16 v11, v76, v80, v11
	;;#ASMEND
	s_waitcnt lgkmcnt(3)
	;;#ASMSTART
	v_dot2_f32_f16 v12, v73, v81, v12
	;;#ASMEND
	;;#ASMSTART
	v_dot2_f32_f16 v12, v74, v82, v12
	;;#ASMEND
	;;#ASMSTART
	v_dot2_f32_f16 v12, v75, v83, v12
	;;#ASMEND
	;;#ASMSTART
	v_dot2_f32_f16 v12, v76, v84, v12
	;;#ASMEND
	;; [unrolled: 13-line block ×5, first 2 shown]
	;;#ASMSTART
	v_dot2_f32_f16 v16, v93, v81, v16
	;;#ASMEND
	;;#ASMSTART
	v_dot2_f32_f16 v16, v94, v82, v16
	;;#ASMEND
	;; [unrolled: 3-line block ×12, first 2 shown]
	ds_read_b128 v[73:76], v42 offset:48
	ds_read_b128 v[77:80], v29 offset:176
	;; [unrolled: 1-line block ×6, first 2 shown]
	s_waitcnt lgkmcnt(4)
	;;#ASMSTART
	v_dot2_f32_f16 v11, v73, v77, v11
	;;#ASMEND
	;;#ASMSTART
	v_dot2_f32_f16 v11, v74, v78, v11
	;;#ASMEND
	;;#ASMSTART
	v_dot2_f32_f16 v11, v75, v79, v11
	;;#ASMEND
	;;#ASMSTART
	v_dot2_f32_f16 v11, v76, v80, v11
	;;#ASMEND
	s_waitcnt lgkmcnt(3)
	;;#ASMSTART
	v_dot2_f32_f16 v12, v73, v81, v12
	;;#ASMEND
	;;#ASMSTART
	v_dot2_f32_f16 v12, v74, v82, v12
	;;#ASMEND
	;;#ASMSTART
	v_dot2_f32_f16 v12, v75, v83, v12
	;;#ASMEND
	;;#ASMSTART
	v_dot2_f32_f16 v12, v76, v84, v12
	;;#ASMEND
	;; [unrolled: 13-line block ×5, first 2 shown]
	;;#ASMSTART
	v_dot2_f32_f16 v16, v93, v81, v16
	;;#ASMEND
	;;#ASMSTART
	v_dot2_f32_f16 v16, v94, v82, v16
	;;#ASMEND
	;; [unrolled: 3-line block ×12, first 2 shown]
	ds_read_b128 v[73:76], v42 offset:64
	ds_read_b128 v[77:80], v29 offset:192
	;; [unrolled: 1-line block ×6, first 2 shown]
	s_waitcnt lgkmcnt(4)
	;;#ASMSTART
	v_dot2_f32_f16 v11, v73, v77, v11
	;;#ASMEND
	;;#ASMSTART
	v_dot2_f32_f16 v11, v74, v78, v11
	;;#ASMEND
	;;#ASMSTART
	v_dot2_f32_f16 v11, v75, v79, v11
	;;#ASMEND
	;;#ASMSTART
	v_dot2_f32_f16 v11, v76, v80, v11
	;;#ASMEND
	s_waitcnt lgkmcnt(3)
	;;#ASMSTART
	v_dot2_f32_f16 v12, v73, v81, v12
	;;#ASMEND
	;;#ASMSTART
	v_dot2_f32_f16 v12, v74, v82, v12
	;;#ASMEND
	;;#ASMSTART
	v_dot2_f32_f16 v12, v75, v83, v12
	;;#ASMEND
	;;#ASMSTART
	v_dot2_f32_f16 v12, v76, v84, v12
	;;#ASMEND
	;; [unrolled: 13-line block ×5, first 2 shown]
	;;#ASMSTART
	v_dot2_f32_f16 v16, v93, v81, v16
	;;#ASMEND
	;;#ASMSTART
	v_dot2_f32_f16 v16, v94, v82, v16
	;;#ASMEND
	;; [unrolled: 3-line block ×12, first 2 shown]
	ds_read_b128 v[73:76], v42 offset:80
	ds_read_b128 v[77:80], v29 offset:208
	;; [unrolled: 1-line block ×6, first 2 shown]
	s_waitcnt lgkmcnt(4)
	;;#ASMSTART
	v_dot2_f32_f16 v11, v73, v77, v11
	;;#ASMEND
	;;#ASMSTART
	v_dot2_f32_f16 v11, v74, v78, v11
	;;#ASMEND
	;;#ASMSTART
	v_dot2_f32_f16 v11, v75, v79, v11
	;;#ASMEND
	;;#ASMSTART
	v_dot2_f32_f16 v11, v76, v80, v11
	;;#ASMEND
	s_waitcnt lgkmcnt(3)
	;;#ASMSTART
	v_dot2_f32_f16 v12, v73, v81, v12
	;;#ASMEND
	;;#ASMSTART
	v_dot2_f32_f16 v12, v74, v82, v12
	;;#ASMEND
	;;#ASMSTART
	v_dot2_f32_f16 v12, v75, v83, v12
	;;#ASMEND
	;;#ASMSTART
	v_dot2_f32_f16 v12, v76, v84, v12
	;;#ASMEND
	s_waitcnt lgkmcnt(2)
	;;#ASMSTART
	v_dot2_f32_f16 v13, v73, v85, v13
	;;#ASMEND
	;;#ASMSTART
	v_dot2_f32_f16 v13, v74, v86, v13
	;;#ASMEND
	;;#ASMSTART
	v_dot2_f32_f16 v13, v75, v87, v13
	;;#ASMEND
	;;#ASMSTART
	v_dot2_f32_f16 v13, v76, v88, v13
	;;#ASMEND
	s_waitcnt lgkmcnt(1)
	;;#ASMSTART
	v_dot2_f32_f16 v14, v73, v89, v14
	;;#ASMEND
	;;#ASMSTART
	v_dot2_f32_f16 v14, v74, v90, v14
	;;#ASMEND
	;;#ASMSTART
	v_dot2_f32_f16 v14, v75, v91, v14
	;;#ASMEND
	;;#ASMSTART
	v_dot2_f32_f16 v14, v76, v92, v14
	;;#ASMEND
	s_waitcnt lgkmcnt(0)
	;;#ASMSTART
	v_dot2_f32_f16 v15, v93, v77, v15
	;;#ASMEND
	;;#ASMSTART
	v_dot2_f32_f16 v15, v94, v78, v15
	;;#ASMEND
	;;#ASMSTART
	v_dot2_f32_f16 v15, v95, v79, v15
	;;#ASMEND
	;;#ASMSTART
	v_dot2_f32_f16 v15, v96, v80, v15
	;;#ASMEND
	;;#ASMSTART
	v_dot2_f32_f16 v16, v93, v81, v16
	;;#ASMEND
	;;#ASMSTART
	v_dot2_f32_f16 v16, v94, v82, v16
	;;#ASMEND
	;; [unrolled: 3-line block ×12, first 2 shown]
	ds_read_b128 v[73:76], v42 offset:96
	ds_read_b128 v[77:80], v29 offset:224
	;; [unrolled: 1-line block ×6, first 2 shown]
	s_waitcnt lgkmcnt(4)
	;;#ASMSTART
	v_dot2_f32_f16 v11, v73, v77, v11
	;;#ASMEND
	;;#ASMSTART
	v_dot2_f32_f16 v11, v74, v78, v11
	;;#ASMEND
	;;#ASMSTART
	v_dot2_f32_f16 v11, v75, v79, v11
	;;#ASMEND
	;;#ASMSTART
	v_dot2_f32_f16 v11, v76, v80, v11
	;;#ASMEND
	s_waitcnt lgkmcnt(3)
	;;#ASMSTART
	v_dot2_f32_f16 v12, v73, v81, v12
	;;#ASMEND
	;;#ASMSTART
	v_dot2_f32_f16 v12, v74, v82, v12
	;;#ASMEND
	;;#ASMSTART
	v_dot2_f32_f16 v12, v75, v83, v12
	;;#ASMEND
	;;#ASMSTART
	v_dot2_f32_f16 v12, v76, v84, v12
	;;#ASMEND
	;; [unrolled: 13-line block ×5, first 2 shown]
	;;#ASMSTART
	v_dot2_f32_f16 v16, v93, v81, v16
	;;#ASMEND
	;;#ASMSTART
	v_dot2_f32_f16 v16, v94, v82, v16
	;;#ASMEND
	;; [unrolled: 3-line block ×12, first 2 shown]
	ds_read_b128 v[73:76], v42 offset:112
	ds_read_b128 v[77:80], v29 offset:240
	;; [unrolled: 1-line block ×6, first 2 shown]
	s_waitcnt lgkmcnt(4)
	;;#ASMSTART
	v_dot2_f32_f16 v11, v73, v77, v11
	;;#ASMEND
	;;#ASMSTART
	v_dot2_f32_f16 v11, v74, v78, v11
	;;#ASMEND
	;;#ASMSTART
	v_dot2_f32_f16 v11, v75, v79, v11
	;;#ASMEND
	;;#ASMSTART
	v_dot2_f32_f16 v11, v76, v80, v11
	;;#ASMEND
	s_waitcnt lgkmcnt(3)
	;;#ASMSTART
	v_dot2_f32_f16 v12, v73, v81, v12
	;;#ASMEND
	;;#ASMSTART
	v_dot2_f32_f16 v12, v74, v82, v12
	;;#ASMEND
	;;#ASMSTART
	v_dot2_f32_f16 v12, v75, v83, v12
	;;#ASMEND
	;;#ASMSTART
	v_dot2_f32_f16 v12, v76, v84, v12
	;;#ASMEND
	;; [unrolled: 13-line block ×5, first 2 shown]
	;;#ASMSTART
	v_dot2_f32_f16 v16, v93, v81, v16
	;;#ASMEND
	;;#ASMSTART
	v_dot2_f32_f16 v16, v94, v82, v16
	;;#ASMEND
	;; [unrolled: 3-line block ×12, first 2 shown]
	s_barrier
	buffer_gl0_inv
	s_clause 0x1
	global_load_dwordx4 v[73:76], v[9:10], off offset:256
	global_load_dwordx4 v[7:10], v[7:8], off offset:256
	s_waitcnt vmcnt(1)
	ds_write_b128 v40, v[73:76]
	s_waitcnt vmcnt(0)
	ds_write_b128 v41, v[7:10]
	s_waitcnt lgkmcnt(0)
	s_barrier
	buffer_gl0_inv
	ds_read_b128 v[7:10], v42
	ds_read_b128 v[73:76], v29 offset:256
	ds_read_b128 v[77:80], v29 offset:640
	;; [unrolled: 1-line block ×5, first 2 shown]
	s_waitcnt lgkmcnt(4)
	;;#ASMSTART
	v_dot2_f32_f16 v11, v7, v73, v11
	;;#ASMEND
	;;#ASMSTART
	v_dot2_f32_f16 v11, v8, v74, v11
	;;#ASMEND
	;;#ASMSTART
	v_dot2_f32_f16 v11, v9, v75, v11
	;;#ASMEND
	;;#ASMSTART
	v_dot2_f32_f16 v11, v10, v76, v11
	;;#ASMEND
	s_waitcnt lgkmcnt(3)
	;;#ASMSTART
	v_dot2_f32_f16 v12, v7, v77, v12
	;;#ASMEND
	;;#ASMSTART
	v_dot2_f32_f16 v12, v8, v78, v12
	;;#ASMEND
	;;#ASMSTART
	v_dot2_f32_f16 v12, v9, v79, v12
	;;#ASMEND
	;;#ASMSTART
	v_dot2_f32_f16 v12, v10, v80, v12
	;;#ASMEND
	;; [unrolled: 13-line block ×5, first 2 shown]
	;;#ASMSTART
	v_dot2_f32_f16 v16, v89, v77, v16
	;;#ASMEND
	;;#ASMSTART
	v_dot2_f32_f16 v16, v90, v78, v16
	;;#ASMEND
	;; [unrolled: 3-line block ×12, first 2 shown]
	ds_read_b128 v[7:10], v42 offset:16
	ds_read_b128 v[73:76], v29 offset:272
	;; [unrolled: 1-line block ×6, first 2 shown]
	s_waitcnt lgkmcnt(4)
	;;#ASMSTART
	v_dot2_f32_f16 v11, v7, v73, v11
	;;#ASMEND
	;;#ASMSTART
	v_dot2_f32_f16 v11, v8, v74, v11
	;;#ASMEND
	;;#ASMSTART
	v_dot2_f32_f16 v11, v9, v75, v11
	;;#ASMEND
	;;#ASMSTART
	v_dot2_f32_f16 v11, v10, v76, v11
	;;#ASMEND
	s_waitcnt lgkmcnt(3)
	;;#ASMSTART
	v_dot2_f32_f16 v12, v7, v77, v12
	;;#ASMEND
	;;#ASMSTART
	v_dot2_f32_f16 v12, v8, v78, v12
	;;#ASMEND
	;;#ASMSTART
	v_dot2_f32_f16 v12, v9, v79, v12
	;;#ASMEND
	;;#ASMSTART
	v_dot2_f32_f16 v12, v10, v80, v12
	;;#ASMEND
	;; [unrolled: 13-line block ×5, first 2 shown]
	;;#ASMSTART
	v_dot2_f32_f16 v16, v89, v77, v16
	;;#ASMEND
	;;#ASMSTART
	v_dot2_f32_f16 v16, v90, v78, v16
	;;#ASMEND
	;; [unrolled: 3-line block ×12, first 2 shown]
	ds_read_b128 v[7:10], v42 offset:32
	ds_read_b128 v[73:76], v29 offset:288
	;; [unrolled: 1-line block ×6, first 2 shown]
	s_waitcnt lgkmcnt(4)
	;;#ASMSTART
	v_dot2_f32_f16 v11, v7, v73, v11
	;;#ASMEND
	;;#ASMSTART
	v_dot2_f32_f16 v11, v8, v74, v11
	;;#ASMEND
	;;#ASMSTART
	v_dot2_f32_f16 v11, v9, v75, v11
	;;#ASMEND
	;;#ASMSTART
	v_dot2_f32_f16 v11, v10, v76, v11
	;;#ASMEND
	s_waitcnt lgkmcnt(3)
	;;#ASMSTART
	v_dot2_f32_f16 v12, v7, v77, v12
	;;#ASMEND
	;;#ASMSTART
	v_dot2_f32_f16 v12, v8, v78, v12
	;;#ASMEND
	;;#ASMSTART
	v_dot2_f32_f16 v12, v9, v79, v12
	;;#ASMEND
	;;#ASMSTART
	v_dot2_f32_f16 v12, v10, v80, v12
	;;#ASMEND
	;; [unrolled: 13-line block ×5, first 2 shown]
	;;#ASMSTART
	v_dot2_f32_f16 v16, v89, v77, v16
	;;#ASMEND
	;;#ASMSTART
	v_dot2_f32_f16 v16, v90, v78, v16
	;;#ASMEND
	;; [unrolled: 3-line block ×12, first 2 shown]
	ds_read_b128 v[7:10], v42 offset:48
	ds_read_b128 v[73:76], v29 offset:304
	;; [unrolled: 1-line block ×6, first 2 shown]
	s_waitcnt lgkmcnt(4)
	;;#ASMSTART
	v_dot2_f32_f16 v11, v7, v73, v11
	;;#ASMEND
	;;#ASMSTART
	v_dot2_f32_f16 v11, v8, v74, v11
	;;#ASMEND
	;;#ASMSTART
	v_dot2_f32_f16 v11, v9, v75, v11
	;;#ASMEND
	;;#ASMSTART
	v_dot2_f32_f16 v11, v10, v76, v11
	;;#ASMEND
	s_waitcnt lgkmcnt(3)
	;;#ASMSTART
	v_dot2_f32_f16 v12, v7, v77, v12
	;;#ASMEND
	;;#ASMSTART
	v_dot2_f32_f16 v12, v8, v78, v12
	;;#ASMEND
	;;#ASMSTART
	v_dot2_f32_f16 v12, v9, v79, v12
	;;#ASMEND
	;;#ASMSTART
	v_dot2_f32_f16 v12, v10, v80, v12
	;;#ASMEND
	;; [unrolled: 13-line block ×5, first 2 shown]
	;;#ASMSTART
	v_dot2_f32_f16 v16, v89, v77, v16
	;;#ASMEND
	;;#ASMSTART
	v_dot2_f32_f16 v16, v90, v78, v16
	;;#ASMEND
	;; [unrolled: 3-line block ×12, first 2 shown]
	ds_read_b128 v[7:10], v42 offset:64
	ds_read_b128 v[73:76], v29 offset:320
	;; [unrolled: 1-line block ×6, first 2 shown]
	s_waitcnt lgkmcnt(4)
	;;#ASMSTART
	v_dot2_f32_f16 v11, v7, v73, v11
	;;#ASMEND
	;;#ASMSTART
	v_dot2_f32_f16 v11, v8, v74, v11
	;;#ASMEND
	;;#ASMSTART
	v_dot2_f32_f16 v11, v9, v75, v11
	;;#ASMEND
	;;#ASMSTART
	v_dot2_f32_f16 v11, v10, v76, v11
	;;#ASMEND
	s_waitcnt lgkmcnt(3)
	;;#ASMSTART
	v_dot2_f32_f16 v12, v7, v77, v12
	;;#ASMEND
	;;#ASMSTART
	v_dot2_f32_f16 v12, v8, v78, v12
	;;#ASMEND
	;;#ASMSTART
	v_dot2_f32_f16 v12, v9, v79, v12
	;;#ASMEND
	;;#ASMSTART
	v_dot2_f32_f16 v12, v10, v80, v12
	;;#ASMEND
	;; [unrolled: 13-line block ×5, first 2 shown]
	;;#ASMSTART
	v_dot2_f32_f16 v16, v89, v77, v16
	;;#ASMEND
	;;#ASMSTART
	v_dot2_f32_f16 v16, v90, v78, v16
	;;#ASMEND
	;; [unrolled: 3-line block ×12, first 2 shown]
	ds_read_b128 v[7:10], v42 offset:80
	ds_read_b128 v[73:76], v29 offset:336
	;; [unrolled: 1-line block ×6, first 2 shown]
	s_waitcnt lgkmcnt(4)
	;;#ASMSTART
	v_dot2_f32_f16 v11, v7, v73, v11
	;;#ASMEND
	;;#ASMSTART
	v_dot2_f32_f16 v11, v8, v74, v11
	;;#ASMEND
	;;#ASMSTART
	v_dot2_f32_f16 v11, v9, v75, v11
	;;#ASMEND
	;;#ASMSTART
	v_dot2_f32_f16 v11, v10, v76, v11
	;;#ASMEND
	s_waitcnt lgkmcnt(3)
	;;#ASMSTART
	v_dot2_f32_f16 v12, v7, v77, v12
	;;#ASMEND
	;;#ASMSTART
	v_dot2_f32_f16 v12, v8, v78, v12
	;;#ASMEND
	;;#ASMSTART
	v_dot2_f32_f16 v12, v9, v79, v12
	;;#ASMEND
	;;#ASMSTART
	v_dot2_f32_f16 v12, v10, v80, v12
	;;#ASMEND
	;; [unrolled: 13-line block ×5, first 2 shown]
	;;#ASMSTART
	v_dot2_f32_f16 v16, v89, v77, v16
	;;#ASMEND
	;;#ASMSTART
	v_dot2_f32_f16 v16, v90, v78, v16
	;;#ASMEND
	;;#ASMSTART
	v_dot2_f32_f16 v16, v91, v79, v16
	;;#ASMEND
	;;#ASMSTART
	v_dot2_f32_f16 v16, v92, v80, v16
	;;#ASMEND
	;;#ASMSTART
	v_dot2_f32_f16 v66, v89, v81, v66
	;;#ASMEND
	;;#ASMSTART
	v_dot2_f32_f16 v66, v90, v82, v66
	;;#ASMEND
	;;#ASMSTART
	v_dot2_f32_f16 v66, v91, v83, v66
	;;#ASMEND
	;;#ASMSTART
	v_dot2_f32_f16 v66, v92, v84, v66
	;;#ASMEND
	;;#ASMSTART
	v_dot2_f32_f16 v67, v89, v85, v67
	;;#ASMEND
	;;#ASMSTART
	v_dot2_f32_f16 v67, v90, v86, v67
	;;#ASMEND
	;;#ASMSTART
	v_dot2_f32_f16 v67, v91, v87, v67
	;;#ASMEND
	;;#ASMSTART
	v_dot2_f32_f16 v67, v92, v88, v67
	;;#ASMEND
	ds_read_b128 v[7:10], v42 offset:96
	ds_read_b128 v[73:76], v29 offset:352
	;; [unrolled: 1-line block ×6, first 2 shown]
	s_waitcnt lgkmcnt(4)
	;;#ASMSTART
	v_dot2_f32_f16 v11, v7, v73, v11
	;;#ASMEND
	;;#ASMSTART
	v_dot2_f32_f16 v11, v8, v74, v11
	;;#ASMEND
	;;#ASMSTART
	v_dot2_f32_f16 v11, v9, v75, v11
	;;#ASMEND
	;;#ASMSTART
	v_dot2_f32_f16 v11, v10, v76, v11
	;;#ASMEND
	s_waitcnt lgkmcnt(3)
	;;#ASMSTART
	v_dot2_f32_f16 v12, v7, v77, v12
	;;#ASMEND
	;;#ASMSTART
	v_dot2_f32_f16 v12, v8, v78, v12
	;;#ASMEND
	;;#ASMSTART
	v_dot2_f32_f16 v12, v9, v79, v12
	;;#ASMEND
	;;#ASMSTART
	v_dot2_f32_f16 v12, v10, v80, v12
	;;#ASMEND
	;; [unrolled: 13-line block ×5, first 2 shown]
	;;#ASMSTART
	v_dot2_f32_f16 v16, v89, v77, v16
	;;#ASMEND
	;;#ASMSTART
	v_dot2_f32_f16 v16, v90, v78, v16
	;;#ASMEND
	;; [unrolled: 3-line block ×12, first 2 shown]
	ds_read_b128 v[7:10], v42 offset:112
	ds_read_b128 v[73:76], v29 offset:368
	;; [unrolled: 1-line block ×6, first 2 shown]
	s_waitcnt lgkmcnt(4)
	;;#ASMSTART
	v_dot2_f32_f16 v11, v7, v73, v11
	;;#ASMEND
	;;#ASMSTART
	v_dot2_f32_f16 v11, v8, v74, v11
	;;#ASMEND
	;;#ASMSTART
	v_dot2_f32_f16 v11, v9, v75, v11
	;;#ASMEND
	;;#ASMSTART
	v_dot2_f32_f16 v11, v10, v76, v11
	;;#ASMEND
	s_waitcnt lgkmcnt(3)
	;;#ASMSTART
	v_dot2_f32_f16 v12, v7, v77, v12
	;;#ASMEND
	;;#ASMSTART
	v_dot2_f32_f16 v12, v8, v78, v12
	;;#ASMEND
	;;#ASMSTART
	v_dot2_f32_f16 v12, v9, v79, v12
	;;#ASMEND
	;;#ASMSTART
	v_dot2_f32_f16 v12, v10, v80, v12
	;;#ASMEND
	;; [unrolled: 13-line block ×5, first 2 shown]
	;;#ASMSTART
	v_dot2_f32_f16 v16, v89, v77, v16
	;;#ASMEND
	;;#ASMSTART
	v_dot2_f32_f16 v16, v90, v78, v16
	;;#ASMEND
	;; [unrolled: 3-line block ×12, first 2 shown]
	s_clause 0x1
	global_load_ushort v9, v[5:6], off
	global_load_ushort v10, v[5:6], off offset:64
	s_waitcnt vmcnt(0)
	s_barrier
	buffer_gl0_inv
	s_clause 0x1
	global_load_dwordx4 v[5:8], v[3:4], off
	global_load_dwordx4 v[74:77], v[1:2], off
	v_cvt_f32_f16_e32 v1, v9
	v_cvt_f32_f16_e32 v2, v10
	v_add_f32_e32 v9, v11, v1
	v_add_f32_e32 v10, v15, v2
	;; [unrolled: 1-line block ×16, first 2 shown]
	v_max3_f32 v1, v65, v1, v2
	v_max3_f32 v2, v64, v3, v4
	;; [unrolled: 1-line block ×4, first 2 shown]
	ds_bpermute_b32 v66, v72, v1
	ds_bpermute_b32 v67, v72, v2
	ds_bpermute_b32 v73, v72, v3
	ds_bpermute_b32 v72, v72, v4
	s_waitcnt lgkmcnt(3)
	v_max_f32_e32 v66, v66, v66
	s_waitcnt lgkmcnt(2)
	v_max_f32_e32 v67, v67, v67
	s_waitcnt lgkmcnt(1)
	v_max_f32_e32 v73, v73, v73
	s_waitcnt lgkmcnt(0)
	v_max_f32_e32 v72, v72, v72
	v_max_f32_e32 v1, v1, v66
	v_max_f32_e32 v2, v2, v67
	v_max_f32_e32 v3, v3, v73
	v_max_f32_e32 v4, v4, v72
	ds_bpermute_b32 v66, v71, v1
	ds_bpermute_b32 v67, v71, v2
	ds_bpermute_b32 v72, v71, v3
	ds_bpermute_b32 v71, v71, v4
	s_waitcnt lgkmcnt(3)
	v_max_f32_e32 v66, v66, v66
	s_waitcnt lgkmcnt(2)
	v_max_f32_e32 v67, v67, v67
	s_waitcnt lgkmcnt(1)
	v_max_f32_e32 v72, v72, v72
	s_waitcnt lgkmcnt(0)
	v_max_f32_e32 v71, v71, v71
	v_max_f32_e32 v1, v1, v66
	v_max_f32_e32 v2, v2, v67
	v_max_f32_e32 v3, v3, v72
	v_max_f32_e32 v4, v4, v71
	;; [unrolled: 16-line block ×5, first 2 shown]
	v_sub_f32_e32 v9, v9, v1
	v_sub_f32_e32 v10, v10, v1
	v_sub_f32_e32 v11, v11, v2
	v_sub_f32_e32 v12, v12, v2
	v_sub_f32_e32 v13, v13, v3
	v_sub_f32_e32 v15, v15, v3
	v_sub_f32_e32 v14, v14, v4
	v_sub_f32_e32 v16, v16, v4
	v_mul_f32_e32 v66, 0x3fb8aa3b, v9
	v_mul_f32_e32 v67, 0x3fb8aa3b, v10
	v_mul_f32_e32 v68, 0x3fb8aa3b, v11
	v_mul_f32_e32 v69, 0x3fb8aa3b, v12
	v_mul_f32_e32 v70, 0x3fb8aa3b, v13
	v_mul_f32_e32 v71, 0x3fb8aa3b, v15
	v_mul_f32_e32 v72, 0x3fb8aa3b, v14
	v_mul_f32_e32 v73, 0x3fb8aa3b, v16
	v_fma_f32 v78, 0x3fb8aa3b, v9, -v66
	v_rndne_f32_e32 v79, v66
	v_fma_f32 v80, 0x3fb8aa3b, v10, -v67
	v_rndne_f32_e32 v81, v67
	;; [unrolled: 2-line block ×8, first 2 shown]
	v_fmac_f32_e32 v78, 0x32a5705f, v9
	v_fmac_f32_e32 v80, 0x32a5705f, v10
	v_fmac_f32_e32 v82, 0x32a5705f, v11
	v_fmac_f32_e32 v84, 0x32a5705f, v12
	v_fmac_f32_e32 v86, 0x32a5705f, v13
	v_fmac_f32_e32 v88, 0x32a5705f, v15
	v_sub_f32_e32 v66, v66, v79
	v_sub_f32_e32 v67, v67, v81
	;; [unrolled: 1-line block ×6, first 2 shown]
	v_fmac_f32_e32 v90, 0x32a5705f, v14
	v_sub_f32_e32 v72, v72, v91
	v_fmac_f32_e32 v92, 0x32a5705f, v16
	v_sub_f32_e32 v73, v73, v93
	v_add_f32_e32 v66, v66, v78
	v_add_f32_e32 v67, v67, v80
	;; [unrolled: 1-line block ×8, first 2 shown]
	v_exp_f32_e32 v68, v68
	v_exp_f32_e32 v69, v69
	v_exp_f32_e32 v70, v70
	v_exp_f32_e32 v66, v66
	v_exp_f32_e32 v71, v71
	v_exp_f32_e32 v67, v67
	v_exp_f32_e32 v72, v72
	v_exp_f32_e32 v73, v73
	v_cvt_i32_f32_e32 v79, v79
	v_cvt_i32_f32_e32 v81, v81
	;; [unrolled: 1-line block ×8, first 2 shown]
	v_ldexp_f32 v68, v68, v83
	v_cmp_ngt_f32_e32 vcc_lo, 0xc2ce8ed0, v11
	v_ldexp_f32 v69, v69, v85
	v_cmp_ngt_f32_e64 s0, 0xc2ce8ed0, v12
	v_ldexp_f32 v70, v70, v87
	v_cmp_ngt_f32_e64 s1, 0xc2ce8ed0, v13
	;; [unrolled: 2-line block ×4, first 2 shown]
	v_ldexp_f32 v67, v67, v81
	v_ldexp_f32 v73, v73, v93
	v_cmp_ngt_f32_e64 s6, 0xc2ce8ed0, v16
	v_ldexp_f32 v66, v66, v79
	v_cmp_ngt_f32_e64 s7, 0xc2ce8ed0, v9
	v_cmp_ngt_f32_e64 s8, 0xc2ce8ed0, v10
	v_sub_f32_e32 v62, v62, v4
	v_cndmask_b32_e64 v67, 0, v67, s8
	v_cmp_nlt_f32_e64 s8, 0x42b17218, v10
	v_cndmask_b32_e32 v10, 0, v68, vcc_lo
	v_cmp_nlt_f32_e32 vcc_lo, 0x42b17218, v11
	v_cndmask_b32_e64 v11, 0, v69, s0
	v_cmp_nlt_f32_e64 s0, 0x42b17218, v12
	v_cndmask_b32_e64 v12, 0, v70, s1
	v_cmp_nlt_f32_e64 s1, 0x42b17218, v13
	;; [unrolled: 2-line block ×3, first 2 shown]
	v_cndmask_b32_e64 v15, 0, v66, s7
	v_cndmask_b32_e64 v71, 0, v72, s3
	v_cmp_nlt_f32_e64 s3, 0x42b17218, v14
	v_cndmask_b32_e64 v14, 0, v73, s6
	v_cmp_nlt_f32_e64 s6, 0x42b17218, v16
	v_cmp_nlt_f32_e64 s7, 0x42b17218, v9
	v_cndmask_b32_e64 v72, 0x7f800000, v67, s8
	v_cndmask_b32_e32 v69, 0x7f800000, v10, vcc_lo
	v_cndmask_b32_e64 v73, 0x7f800000, v11, s0
	v_cndmask_b32_e64 v66, 0x7f800000, v12, s1
	;; [unrolled: 1-line block ×6, first 2 shown]
	v_cvt_f16_f32_e32 v11, v72
	v_cvt_f16_f32_e32 v9, v68
	;; [unrolled: 1-line block ×8, first 2 shown]
	v_pack_b32_f16 v9, v9, v12
	v_pack_b32_f16 v10, v10, v13
	v_cmp_ngt_f32_e64 s1, 0xc2ce8ed0, v62
	v_pack_b32_f16 v12, v14, v15
	v_pack_b32_f16 v11, v11, v16
	ds_write2_b64 v47, v[9:10], v[11:12] offset1:32
	s_waitcnt vmcnt(1)
	ds_write_b128 v44, v[5:8]
	s_waitcnt vmcnt(0)
	ds_write_b128 v45, v[74:77]
	s_waitcnt lgkmcnt(0)
	s_barrier
	buffer_gl0_inv
	ds_read_b128 v[13:16], v43
	ds_read_b128 v[9:12], v43 offset:16
	ds_read_b128 v[5:8], v43 offset:32
	;; [unrolled: 1-line block ×5, first 2 shown]
	s_waitcnt lgkmcnt(5)
	v_mul_u32_u24_sdwa v86, v13, v49 dst_sel:DWORD dst_unused:UNUSED_PAD src0_sel:WORD_0 src1_sel:DWORD
	s_waitcnt lgkmcnt(4)
	v_mul_u32_u24_sdwa v90, v9, v49 dst_sel:DWORD dst_unused:UNUSED_PAD src0_sel:WORD_0 src1_sel:DWORD
	;; [unrolled: 2-line block ×3, first 2 shown]
	v_mul_u32_u24_sdwa v99, v5, v49 dst_sel:DWORD dst_unused:UNUSED_PAD src0_sel:WORD_1 src1_sel:DWORD
	v_sub_f32_e32 v5, v65, v1
	v_mul_u32_u24_sdwa v100, v6, v49 dst_sel:DWORD dst_unused:UNUSED_PAD src0_sel:WORD_0 src1_sel:DWORD
	v_mul_u32_u24_sdwa v101, v6, v49 dst_sel:DWORD dst_unused:UNUSED_PAD src0_sel:WORD_1 src1_sel:DWORD
	v_mul_u32_u24_sdwa v102, v7, v49 dst_sel:DWORD dst_unused:UNUSED_PAD src0_sel:WORD_0 src1_sel:DWORD
	v_mul_u32_u24_sdwa v103, v7, v49 dst_sel:DWORD dst_unused:UNUSED_PAD src0_sel:WORD_1 src1_sel:DWORD
	v_mul_f32_e32 v6, 0x3fb8aa3b, v5
	v_mul_u32_u24_sdwa v104, v8, v49 dst_sel:DWORD dst_unused:UNUSED_PAD src0_sel:WORD_0 src1_sel:DWORD
	v_mul_u32_u24_sdwa v105, v8, v49 dst_sel:DWORD dst_unused:UNUSED_PAD src0_sel:WORD_1 src1_sel:DWORD
	v_mul_u32_u24_sdwa v91, v9, v49 dst_sel:DWORD dst_unused:UNUSED_PAD src0_sel:WORD_1 src1_sel:DWORD
	v_mul_u32_u24_sdwa v92, v10, v49 dst_sel:DWORD dst_unused:UNUSED_PAD src0_sel:WORD_0 src1_sel:DWORD
	v_fma_f32 v7, 0x3fb8aa3b, v5, -v6
	v_rndne_f32_e32 v8, v6
	v_mul_u32_u24_sdwa v93, v10, v49 dst_sel:DWORD dst_unused:UNUSED_PAD src0_sel:WORD_1 src1_sel:DWORD
	v_mul_u32_u24_sdwa v94, v11, v49 dst_sel:DWORD dst_unused:UNUSED_PAD src0_sel:WORD_0 src1_sel:DWORD
	v_mul_u32_u24_sdwa v95, v11, v49 dst_sel:DWORD dst_unused:UNUSED_PAD src0_sel:WORD_1 src1_sel:DWORD
	v_fmac_f32_e32 v7, 0x32a5705f, v5
	v_sub_f32_e32 v6, v6, v8
	v_mul_u32_u24_sdwa v96, v12, v49 dst_sel:DWORD dst_unused:UNUSED_PAD src0_sel:WORD_0 src1_sel:DWORD
	v_mul_u32_u24_sdwa v97, v12, v49 dst_sel:DWORD dst_unused:UNUSED_PAD src0_sel:WORD_1 src1_sel:DWORD
	v_cvt_i32_f32_e32 v8, v8
	v_cmp_ngt_f32_e64 s2, 0xc2ce8ed0, v5
	v_add_f32_e32 v6, v6, v7
	v_sub_f32_e32 v7, v64, v2
	v_mul_u32_u24_sdwa v13, v13, v49 dst_sel:DWORD dst_unused:UNUSED_PAD src0_sel:WORD_1 src1_sel:DWORD
	v_mul_u32_u24_sdwa v87, v14, v49 dst_sel:DWORD dst_unused:UNUSED_PAD src0_sel:WORD_0 src1_sel:DWORD
	v_mul_u32_u24_sdwa v14, v14, v49 dst_sel:DWORD dst_unused:UNUSED_PAD src0_sel:WORD_1 src1_sel:DWORD
	v_exp_f32_e32 v6, v6
	v_mul_f32_e32 v9, 0x3fb8aa3b, v7
	v_cmp_ngt_f32_e32 vcc_lo, 0xc2ce8ed0, v7
	v_mul_u32_u24_sdwa v88, v15, v49 dst_sel:DWORD dst_unused:UNUSED_PAD src0_sel:WORD_0 src1_sel:DWORD
	v_mul_u32_u24_sdwa v15, v15, v49 dst_sel:DWORD dst_unused:UNUSED_PAD src0_sel:WORD_1 src1_sel:DWORD
	v_mul_u32_u24_sdwa v89, v16, v49 dst_sel:DWORD dst_unused:UNUSED_PAD src0_sel:WORD_0 src1_sel:DWORD
	v_fma_f32 v10, 0x3fb8aa3b, v7, -v9
	v_rndne_f32_e32 v11, v9
	v_mul_u32_u24_sdwa v16, v16, v49 dst_sel:DWORD dst_unused:UNUSED_PAD src0_sel:WORD_1 src1_sel:DWORD
	s_waitcnt lgkmcnt(2)
	v_mul_u32_u24_sdwa v106, v74, v49 dst_sel:DWORD dst_unused:UNUSED_PAD src0_sel:WORD_0 src1_sel:DWORD
	v_ldexp_f32 v6, v6, v8
	v_fmac_f32_e32 v10, 0x32a5705f, v7
	v_sub_f32_e32 v9, v9, v11
	v_cvt_i32_f32_e32 v8, v11
	v_mul_u32_u24_sdwa v74, v74, v49 dst_sel:DWORD dst_unused:UNUSED_PAD src0_sel:WORD_1 src1_sel:DWORD
	v_cndmask_b32_e64 v6, 0, v6, s2
	v_cmp_nlt_f32_e64 s2, 0x42b17218, v5
	v_add_f32_e32 v9, v9, v10
	v_sub_f32_e32 v10, v63, v3
	v_mul_u32_u24_sdwa v107, v75, v49 dst_sel:DWORD dst_unused:UNUSED_PAD src0_sel:WORD_0 src1_sel:DWORD
	v_mul_u32_u24_sdwa v75, v75, v49 dst_sel:DWORD dst_unused:UNUSED_PAD src0_sel:WORD_1 src1_sel:DWORD
	v_cndmask_b32_e64 v6, 0x7f800000, v6, s2
	v_exp_f32_e32 v9, v9
	v_mul_f32_e32 v12, 0x3fb8aa3b, v10
	v_cmp_ngt_f32_e64 s0, 0xc2ce8ed0, v10
	v_mul_u32_u24_sdwa v108, v76, v49 dst_sel:DWORD dst_unused:UNUSED_PAD src0_sel:WORD_0 src1_sel:DWORD
	v_cvt_f16_f32_e32 v5, v6
	v_mul_u32_u24_sdwa v76, v76, v49 dst_sel:DWORD dst_unused:UNUSED_PAD src0_sel:WORD_1 src1_sel:DWORD
	v_fma_f32 v63, 0x3fb8aa3b, v10, -v12
	v_rndne_f32_e32 v64, v12
	v_mul_u32_u24_sdwa v109, v77, v49 dst_sel:DWORD dst_unused:UNUSED_PAD src0_sel:WORD_0 src1_sel:DWORD
	v_mul_u32_u24_sdwa v5, v5, v49 dst_sel:DWORD dst_unused:UNUSED_PAD src0_sel:WORD_0 src1_sel:DWORD
	v_ldexp_f32 v8, v9, v8
	v_fmac_f32_e32 v63, 0x32a5705f, v10
	v_sub_f32_e32 v12, v12, v64
	v_cvt_i32_f32_e32 v9, v64
	v_pk_mul_f16 v61, v61, v5
	v_cndmask_b32_e32 v8, 0, v8, vcc_lo
	v_cmp_nlt_f32_e32 vcc_lo, 0x42b17218, v7
	v_add_f32_e32 v12, v12, v63
	v_mul_f32_e32 v63, 0x3fb8aa3b, v62
	v_mul_u32_u24_sdwa v77, v77, v49 dst_sel:DWORD dst_unused:UNUSED_PAD src0_sel:WORD_1 src1_sel:DWORD
	s_waitcnt lgkmcnt(1)
	v_mul_u32_u24_sdwa v111, v79, v49 dst_sel:DWORD dst_unused:UNUSED_PAD src0_sel:WORD_0 src1_sel:DWORD
	v_mul_u32_u24_sdwa v79, v79, v49 dst_sel:DWORD dst_unused:UNUSED_PAD src0_sel:WORD_1 src1_sel:DWORD
	v_exp_f32_e32 v11, v12
	v_fma_f32 v65, 0x3fb8aa3b, v62, -v63
	v_rndne_f32_e32 v118, v63
	v_mul_u32_u24_sdwa v110, v78, v49 dst_sel:DWORD dst_unused:UNUSED_PAD src0_sel:WORD_0 src1_sel:DWORD
	v_mul_u32_u24_sdwa v78, v78, v49 dst_sel:DWORD dst_unused:UNUSED_PAD src0_sel:WORD_1 src1_sel:DWORD
	v_mul_u32_u24_sdwa v113, v81, v49 dst_sel:DWORD dst_unused:UNUSED_PAD src0_sel:WORD_0 src1_sel:DWORD
	v_fmac_f32_e32 v65, 0x32a5705f, v62
	v_sub_f32_e32 v63, v63, v118
	v_mul_u32_u24_sdwa v81, v81, v49 dst_sel:DWORD dst_unused:UNUSED_PAD src0_sel:WORD_1 src1_sel:DWORD
	v_mul_u32_u24_sdwa v112, v80, v49 dst_sel:DWORD dst_unused:UNUSED_PAD src0_sel:WORD_0 src1_sel:DWORD
	v_ldexp_f32 v9, v11, v9
	v_cvt_i32_f32_e32 v11, v118
	v_add_f32_e32 v63, v63, v65
	v_mul_u32_u24_sdwa v80, v80, v49 dst_sel:DWORD dst_unused:UNUSED_PAD src0_sel:WORD_1 src1_sel:DWORD
	s_waitcnt lgkmcnt(0)
	v_mul_u32_u24_sdwa v114, v82, v49 dst_sel:DWORD dst_unused:UNUSED_PAD src0_sel:WORD_0 src1_sel:DWORD
	v_mul_u32_u24_sdwa v82, v82, v49 dst_sel:DWORD dst_unused:UNUSED_PAD src0_sel:WORD_1 src1_sel:DWORD
	v_mul_u32_u24_sdwa v115, v83, v49 dst_sel:DWORD dst_unused:UNUSED_PAD src0_sel:WORD_0 src1_sel:DWORD
	v_exp_f32_e32 v12, v63
	v_cndmask_b32_e64 v63, 0, v9, s0
	v_cmp_nlt_f32_e64 s0, 0x42b17218, v10
	v_mul_u32_u24_sdwa v83, v83, v49 dst_sel:DWORD dst_unused:UNUSED_PAD src0_sel:WORD_1 src1_sel:DWORD
	v_mul_u32_u24_sdwa v116, v84, v49 dst_sel:DWORD dst_unused:UNUSED_PAD src0_sel:WORD_0 src1_sel:DWORD
	v_mul_u32_u24_sdwa v84, v84, v49 dst_sel:DWORD dst_unused:UNUSED_PAD src0_sel:WORD_1 src1_sel:DWORD
	v_mul_u32_u24_sdwa v117, v85, v49 dst_sel:DWORD dst_unused:UNUSED_PAD src0_sel:WORD_0 src1_sel:DWORD
	v_mul_u32_u24_sdwa v85, v85, v49 dst_sel:DWORD dst_unused:UNUSED_PAD src0_sel:WORD_1 src1_sel:DWORD
	v_ldexp_f32 v11, v12, v11
	v_cndmask_b32_e64 v7, 0, v11, s1
	ds_read2_b64 v[9:12], v50 offset1:32
	v_cmp_nlt_f32_e64 s1, 0x42b17218, v62
	s_waitcnt lgkmcnt(0)
	v_pk_mul_f16 v62, v9, v86
	v_pk_fma_f16 v60, v60, v5, v62
	v_cndmask_b32_e64 v5, 0x7f800000, v7, s1
	v_pk_mul_f16 v62, v9, v13
	v_pk_fma_f16 v60, v11, v88, v60
	v_cvt_f16_f32_e32 v7, v5
	v_mul_u32_u24_sdwa v7, v7, v49 dst_sel:DWORD dst_unused:UNUSED_PAD src0_sel:WORD_0 src1_sel:DWORD
	v_pk_mul_f16 v55, v55, v7
	v_pk_mul_f16 v54, v54, v7
	v_cndmask_b32_e32 v7, 0x7f800000, v8, vcc_lo
	v_cvt_f16_f32_e32 v8, v7
	v_mul_u32_u24_sdwa v8, v8, v49 dst_sel:DWORD dst_unused:UNUSED_PAD src0_sel:WORD_0 src1_sel:DWORD
	v_pk_fma_f16 v59, v59, v8, v62
	v_pk_mul_f16 v58, v58, v8
	v_cndmask_b32_e64 v8, 0x7f800000, v63, s0
	v_pk_mul_f16 v63, v9, v87
	v_pk_fma_f16 v9, v9, v14, v55
	v_pk_fma_f16 v14, v10, v14, v54
	;; [unrolled: 1-line block ×3, first 2 shown]
	v_cvt_f16_f32_e32 v62, v8
	v_pk_fma_f16 v54, v10, v86, v61
	v_pk_fma_f16 v55, v11, v16, v9
	;; [unrolled: 1-line block ×4, first 2 shown]
	v_mul_u32_u24_sdwa v62, v62, v49 dst_sel:DWORD dst_unused:UNUSED_PAD src0_sel:WORD_0 src1_sel:DWORD
	v_pk_fma_f16 v54, v12, v88, v54
	s_or_b32 s0, s9, 32
	s_mul_hi_i32 s1, s0, s14
	v_pk_mul_f16 v56, v56, v62
	v_pk_fma_f16 v57, v57, v62, v63
	s_mul_i32 s0, s0, s14
	s_lshl_b64 s[0:1], s[0:1], 2
	v_pk_fma_f16 v10, v10, v87, v56
	v_pk_fma_f16 v56, v12, v16, v14
	ds_read_b128 v[13:16], v43 offset:96
	v_pk_fma_f16 v57, v11, v89, v57
	s_add_u32 s0, s12, s0
	v_pk_fma_f16 v61, v12, v89, v10
	ds_read_b128 v[9:12], v43 offset:112
	s_addc_u32 s1, s13, s1
	s_waitcnt lgkmcnt(1)
	v_mul_u32_u24_sdwa v62, v13, v49 dst_sel:DWORD dst_unused:UNUSED_PAD src0_sel:WORD_0 src1_sel:DWORD
	v_mul_u32_u24_sdwa v63, v13, v49 dst_sel:DWORD dst_unused:UNUSED_PAD src0_sel:WORD_1 src1_sel:DWORD
	v_mul_u32_u24_sdwa v64, v14, v49 dst_sel:DWORD dst_unused:UNUSED_PAD src0_sel:WORD_0 src1_sel:DWORD
	v_mul_u32_u24_sdwa v65, v14, v49 dst_sel:DWORD dst_unused:UNUSED_PAD src0_sel:WORD_1 src1_sel:DWORD
	;; [unrolled: 2-line block ×4, first 2 shown]
	ds_read2_b64 v[13:16], v50 offset0:64 offset1:96
	s_waitcnt lgkmcnt(0)
	v_pk_fma_f16 v54, v14, v90, v54
	v_pk_fma_f16 v60, v13, v90, v60
	;; [unrolled: 1-line block ×12, first 2 shown]
	v_mul_u32_u24_sdwa v60, v9, v49 dst_sel:DWORD dst_unused:UNUSED_PAD src0_sel:WORD_0 src1_sel:DWORD
	v_mul_u32_u24_sdwa v61, v9, v49 dst_sel:DWORD dst_unused:UNUSED_PAD src0_sel:WORD_1 src1_sel:DWORD
	v_mul_u32_u24_sdwa v90, v10, v49 dst_sel:DWORD dst_unused:UNUSED_PAD src0_sel:WORD_0 src1_sel:DWORD
	v_mul_u32_u24_sdwa v91, v10, v49 dst_sel:DWORD dst_unused:UNUSED_PAD src0_sel:WORD_1 src1_sel:DWORD
	v_mul_u32_u24_sdwa v92, v11, v49 dst_sel:DWORD dst_unused:UNUSED_PAD src0_sel:WORD_0 src1_sel:DWORD
	v_mul_u32_u24_sdwa v93, v11, v49 dst_sel:DWORD dst_unused:UNUSED_PAD src0_sel:WORD_1 src1_sel:DWORD
	v_mul_u32_u24_sdwa v94, v12, v49 dst_sel:DWORD dst_unused:UNUSED_PAD src0_sel:WORD_0 src1_sel:DWORD
	v_mul_u32_u24_sdwa v95, v12, v49 dst_sel:DWORD dst_unused:UNUSED_PAD src0_sel:WORD_1 src1_sel:DWORD
	ds_read2_b64 v[9:12], v50 offset0:128 offset1:160
	v_pk_fma_f16 v55, v15, v97, v55
	v_pk_fma_f16 v56, v16, v97, v56
	;; [unrolled: 1-line block ×4, first 2 shown]
	s_waitcnt lgkmcnt(0)
	v_pk_fma_f16 v15, v9, v101, v55
	v_pk_fma_f16 v16, v10, v101, v56
	;; [unrolled: 1-line block ×10, first 2 shown]
	ds_read_b128 v[13:16], v43 offset:128
	v_pk_fma_f16 v54, v12, v102, v54
	v_pk_fma_f16 v56, v12, v103, v56
	;; [unrolled: 1-line block ×6, first 2 shown]
	ds_read_b128 v[9:12], v43 offset:144
	s_waitcnt lgkmcnt(1)
	v_mul_u32_u24_sdwa v98, v13, v49 dst_sel:DWORD dst_unused:UNUSED_PAD src0_sel:WORD_0 src1_sel:DWORD
	v_mul_u32_u24_sdwa v99, v13, v49 dst_sel:DWORD dst_unused:UNUSED_PAD src0_sel:WORD_1 src1_sel:DWORD
	v_mul_u32_u24_sdwa v100, v14, v49 dst_sel:DWORD dst_unused:UNUSED_PAD src0_sel:WORD_0 src1_sel:DWORD
	v_mul_u32_u24_sdwa v101, v14, v49 dst_sel:DWORD dst_unused:UNUSED_PAD src0_sel:WORD_1 src1_sel:DWORD
	v_mul_u32_u24_sdwa v102, v15, v49 dst_sel:DWORD dst_unused:UNUSED_PAD src0_sel:WORD_0 src1_sel:DWORD
	v_mul_u32_u24_sdwa v103, v15, v49 dst_sel:DWORD dst_unused:UNUSED_PAD src0_sel:WORD_1 src1_sel:DWORD
	v_mul_u32_u24_sdwa v104, v16, v49 dst_sel:DWORD dst_unused:UNUSED_PAD src0_sel:WORD_0 src1_sel:DWORD
	v_mul_u32_u24_sdwa v105, v16, v49 dst_sel:DWORD dst_unused:UNUSED_PAD src0_sel:WORD_1 src1_sel:DWORD
	ds_read2_b64 v[13:16], v50 offset0:192 offset1:224
	s_waitcnt lgkmcnt(0)
	v_pk_fma_f16 v58, v13, v75, v58
	v_pk_fma_f16 v59, v14, v75, v59
	;; [unrolled: 1-line block ×12, first 2 shown]
	v_mul_u32_u24_sdwa v74, v9, v49 dst_sel:DWORD dst_unused:UNUSED_PAD src0_sel:WORD_0 src1_sel:DWORD
	v_mul_u32_u24_sdwa v75, v9, v49 dst_sel:DWORD dst_unused:UNUSED_PAD src0_sel:WORD_1 src1_sel:DWORD
	v_mul_u32_u24_sdwa v76, v10, v49 dst_sel:DWORD dst_unused:UNUSED_PAD src0_sel:WORD_0 src1_sel:DWORD
	v_mul_u32_u24_sdwa v77, v10, v49 dst_sel:DWORD dst_unused:UNUSED_PAD src0_sel:WORD_1 src1_sel:DWORD
	;; [unrolled: 2-line block ×4, first 2 shown]
	ds_read2_b64 v[9:12], v51 offset1:32
	v_pk_fma_f16 v54, v16, v108, v54
	v_pk_fma_f16 v55, v15, v108, v55
	;; [unrolled: 1-line block ×4, first 2 shown]
	s_waitcnt lgkmcnt(0)
	v_pk_fma_f16 v15, v9, v79, v58
	v_pk_fma_f16 v16, v10, v79, v59
	;; [unrolled: 1-line block ×10, first 2 shown]
	ds_read_b128 v[13:16], v43 offset:160
	v_pk_fma_f16 v54, v12, v112, v54
	v_pk_fma_f16 v56, v12, v80, v56
	;; [unrolled: 1-line block ×6, first 2 shown]
	ds_read_b128 v[9:12], v43 offset:176
	s_waitcnt lgkmcnt(1)
	v_mul_u32_u24_sdwa v80, v13, v49 dst_sel:DWORD dst_unused:UNUSED_PAD src0_sel:WORD_0 src1_sel:DWORD
	v_mul_u32_u24_sdwa v81, v13, v49 dst_sel:DWORD dst_unused:UNUSED_PAD src0_sel:WORD_1 src1_sel:DWORD
	v_mul_u32_u24_sdwa v108, v14, v49 dst_sel:DWORD dst_unused:UNUSED_PAD src0_sel:WORD_0 src1_sel:DWORD
	v_mul_u32_u24_sdwa v109, v14, v49 dst_sel:DWORD dst_unused:UNUSED_PAD src0_sel:WORD_1 src1_sel:DWORD
	;; [unrolled: 2-line block ×4, first 2 shown]
	ds_read2_b64 v[13:16], v51 offset0:64 offset1:96
	s_waitcnt lgkmcnt(0)
	v_pk_fma_f16 v58, v13, v83, v58
	v_pk_fma_f16 v59, v14, v83, v59
	;; [unrolled: 1-line block ×12, first 2 shown]
	v_mul_u32_u24_sdwa v78, v9, v49 dst_sel:DWORD dst_unused:UNUSED_PAD src0_sel:WORD_0 src1_sel:DWORD
	v_mul_u32_u24_sdwa v79, v9, v49 dst_sel:DWORD dst_unused:UNUSED_PAD src0_sel:WORD_1 src1_sel:DWORD
	v_mul_u32_u24_sdwa v82, v10, v49 dst_sel:DWORD dst_unused:UNUSED_PAD src0_sel:WORD_0 src1_sel:DWORD
	v_mul_u32_u24_sdwa v83, v10, v49 dst_sel:DWORD dst_unused:UNUSED_PAD src0_sel:WORD_1 src1_sel:DWORD
	;; [unrolled: 2-line block ×4, first 2 shown]
	ds_read2_b64 v[9:12], v51 offset0:128 offset1:160
	v_pk_fma_f16 v54, v16, v116, v54
	v_pk_fma_f16 v55, v15, v116, v55
	;; [unrolled: 1-line block ×4, first 2 shown]
	s_waitcnt lgkmcnt(0)
	v_pk_fma_f16 v15, v9, v65, v58
	v_pk_fma_f16 v16, v10, v65, v59
	;; [unrolled: 1-line block ×10, first 2 shown]
	ds_read_b128 v[13:16], v43 offset:192
	v_pk_fma_f16 v54, v12, v86, v54
	v_pk_fma_f16 v56, v12, v87, v56
	;; [unrolled: 1-line block ×6, first 2 shown]
	ds_read_b128 v[9:12], v43 offset:208
	s_waitcnt lgkmcnt(1)
	v_mul_u32_u24_sdwa v64, v13, v49 dst_sel:DWORD dst_unused:UNUSED_PAD src0_sel:WORD_0 src1_sel:DWORD
	v_mul_u32_u24_sdwa v65, v13, v49 dst_sel:DWORD dst_unused:UNUSED_PAD src0_sel:WORD_1 src1_sel:DWORD
	v_mul_u32_u24_sdwa v86, v14, v49 dst_sel:DWORD dst_unused:UNUSED_PAD src0_sel:WORD_0 src1_sel:DWORD
	v_mul_u32_u24_sdwa v87, v14, v49 dst_sel:DWORD dst_unused:UNUSED_PAD src0_sel:WORD_1 src1_sel:DWORD
	;; [unrolled: 2-line block ×4, first 2 shown]
	ds_read2_b64 v[13:16], v51 offset0:192 offset1:224
	s_waitcnt lgkmcnt(1)
	v_mul_u32_u24_sdwa v118, v12, v49 dst_sel:DWORD dst_unused:UNUSED_PAD src0_sel:WORD_0 src1_sel:DWORD
	v_mul_u32_u24_sdwa v119, v12, v49 dst_sel:DWORD dst_unused:UNUSED_PAD src0_sel:WORD_1 src1_sel:DWORD
	s_waitcnt lgkmcnt(0)
	v_pk_fma_f16 v58, v13, v91, v58
	v_pk_fma_f16 v59, v14, v91, v59
	;; [unrolled: 1-line block ×16, first 2 shown]
	v_mul_u32_u24_sdwa v90, v9, v49 dst_sel:DWORD dst_unused:UNUSED_PAD src0_sel:WORD_0 src1_sel:DWORD
	v_mul_u32_u24_sdwa v91, v9, v49 dst_sel:DWORD dst_unused:UNUSED_PAD src0_sel:WORD_1 src1_sel:DWORD
	v_mul_u32_u24_sdwa v92, v10, v49 dst_sel:DWORD dst_unused:UNUSED_PAD src0_sel:WORD_0 src1_sel:DWORD
	v_mul_u32_u24_sdwa v93, v10, v49 dst_sel:DWORD dst_unused:UNUSED_PAD src0_sel:WORD_1 src1_sel:DWORD
	;; [unrolled: 2-line block ×3, first 2 shown]
	ds_read2_b64 v[9:12], v52 offset1:32
	s_waitcnt lgkmcnt(0)
	v_pk_fma_f16 v15, v9, v101, v58
	v_pk_fma_f16 v16, v10, v101, v59
	;; [unrolled: 1-line block ×10, first 2 shown]
	ds_read_b128 v[13:16], v43 offset:224
	v_pk_fma_f16 v54, v12, v102, v54
	v_pk_fma_f16 v56, v12, v103, v56
	v_pk_fma_f16 v55, v11, v102, v55
	v_pk_fma_f16 v57, v11, v103, v57
	v_pk_fma_f16 v60, v12, v104, v10
	v_pk_fma_f16 v61, v11, v104, v9
	ds_read_b128 v[9:12], v43 offset:240
	s_waitcnt lgkmcnt(1)
	v_mul_u32_u24_sdwa v98, v13, v49 dst_sel:DWORD dst_unused:UNUSED_PAD src0_sel:WORD_0 src1_sel:DWORD
	v_mul_u32_u24_sdwa v99, v13, v49 dst_sel:DWORD dst_unused:UNUSED_PAD src0_sel:WORD_1 src1_sel:DWORD
	v_mul_u32_u24_sdwa v100, v14, v49 dst_sel:DWORD dst_unused:UNUSED_PAD src0_sel:WORD_0 src1_sel:DWORD
	v_mul_u32_u24_sdwa v101, v14, v49 dst_sel:DWORD dst_unused:UNUSED_PAD src0_sel:WORD_1 src1_sel:DWORD
	;; [unrolled: 2-line block ×4, first 2 shown]
	ds_read2_b64 v[13:16], v52 offset0:64 offset1:96
	s_waitcnt lgkmcnt(1)
	v_mul_u32_u24_sdwa v120, v11, v49 dst_sel:DWORD dst_unused:UNUSED_PAD src0_sel:WORD_0 src1_sel:DWORD
	v_mul_u32_u24_sdwa v121, v11, v49 dst_sel:DWORD dst_unused:UNUSED_PAD src0_sel:WORD_1 src1_sel:DWORD
	v_mul_u32_u24_sdwa v122, v12, v49 dst_sel:DWORD dst_unused:UNUSED_PAD src0_sel:WORD_0 src1_sel:DWORD
	v_mul_u32_u24_sdwa v123, v12, v49 dst_sel:DWORD dst_unused:UNUSED_PAD src0_sel:WORD_1 src1_sel:DWORD
	s_waitcnt lgkmcnt(0)
	v_pk_fma_f16 v54, v14, v74, v54
	v_pk_fma_f16 v55, v13, v74, v55
	;; [unrolled: 1-line block ×12, first 2 shown]
	v_mul_u32_u24_sdwa v96, v9, v49 dst_sel:DWORD dst_unused:UNUSED_PAD src0_sel:WORD_0 src1_sel:DWORD
	v_mul_u32_u24_sdwa v97, v9, v49 dst_sel:DWORD dst_unused:UNUSED_PAD src0_sel:WORD_1 src1_sel:DWORD
	v_add_co_u32 v9, vcc_lo, s0, v23
	v_pk_fma_f16 v58, v15, v107, v58
	v_pk_fma_f16 v59, v16, v107, v59
	;; [unrolled: 1-line block ×4, first 2 shown]
	v_mul_u32_u24_sdwa v106, v10, v49 dst_sel:DWORD dst_unused:UNUSED_PAD src0_sel:WORD_0 src1_sel:DWORD
	v_mul_u32_u24_sdwa v107, v10, v49 dst_sel:DWORD dst_unused:UNUSED_PAD src0_sel:WORD_1 src1_sel:DWORD
	v_add_co_ci_u32_e64 v10, null, s1, v24, vcc_lo
	v_add_co_u32 v62, vcc_lo, v9, v48
	v_add_co_ci_u32_e64 v63, null, 0, v10, vcc_lo
	v_add_co_u32 v9, vcc_lo, s0, v25
	;; [unrolled: 2-line block ×3, first 2 shown]
	v_add_co_ci_u32_e64 v75, null, 0, v10, vcc_lo
	ds_read2_b64 v[9:12], v52 offset0:128 offset1:160
	s_waitcnt lgkmcnt(0)
	v_pk_fma_f16 v15, v9, v109, v58
	v_pk_fma_f16 v16, v10, v109, v59
	;; [unrolled: 1-line block ×16, first 2 shown]
	ds_read2_b64 v[9:12], v52 offset0:192 offset1:224
	s_waitcnt lgkmcnt(0)
	v_pk_fma_f16 v58, v9, v83, v13
	v_pk_fma_f16 v59, v10, v83, v14
	;; [unrolled: 1-line block ×4, first 2 shown]
	ds_read2_b64 v[13:16], v53 offset1:32
	v_pk_fma_f16 v54, v10, v79, v54
	v_pk_fma_f16 v55, v9, v79, v55
	;; [unrolled: 1-line block ×12, first 2 shown]
	ds_read2_b64 v[54:57], v53 offset0:64 offset1:96
	ds_read2_b64 v[9:12], v53 offset0:128 offset1:160
	s_waitcnt lgkmcnt(2)
	v_pk_fma_f16 v80, v13, v87, v58
	v_pk_fma_f16 v81, v14, v87, v59
	;; [unrolled: 1-line block ×6, first 2 shown]
	ds_read2_b64 v[58:61], v53 offset0:192 offset1:224
	s_waitcnt lgkmcnt(0)
	s_barrier
	buffer_gl0_inv
	global_load_dwordx4 v[62:65], v[62:63], off
	v_pk_fma_f16 v14, v14, v86, v78
	v_pk_fma_f16 v13, v13, v86, v79
	;; [unrolled: 1-line block ×8, first 2 shown]
	global_load_dwordx4 v[74:77], v[74:75], off
	v_pk_fma_f16 v14, v16, v116, v14
	v_pk_fma_f16 v13, v15, v116, v13
	;; [unrolled: 1-line block ×50, first 2 shown]
	s_waitcnt vmcnt(1)
	ds_write_b128 v44, v[62:65]
	s_waitcnt vmcnt(0)
	ds_write_b128 v45, v[74:77]
	s_waitcnt lgkmcnt(0)
	s_barrier
	buffer_gl0_inv
	ds_read_b128 v[9:12], v43 offset:256
	ds_read_b128 v[13:16], v43 offset:272
	;; [unrolled: 1-line block ×6, first 2 shown]
	s_waitcnt lgkmcnt(5)
	v_mul_u32_u24_sdwa v86, v9, v49 dst_sel:DWORD dst_unused:UNUSED_PAD src0_sel:WORD_0 src1_sel:DWORD
	v_mul_u32_u24_sdwa v87, v9, v49 dst_sel:DWORD dst_unused:UNUSED_PAD src0_sel:WORD_1 src1_sel:DWORD
	v_mul_u32_u24_sdwa v88, v10, v49 dst_sel:DWORD dst_unused:UNUSED_PAD src0_sel:WORD_0 src1_sel:DWORD
	v_mul_u32_u24_sdwa v89, v10, v49 dst_sel:DWORD dst_unused:UNUSED_PAD src0_sel:WORD_1 src1_sel:DWORD
	;; [unrolled: 2-line block ×4, first 2 shown]
	ds_read2_b64 v[9:12], v50 offset1:32
	s_waitcnt lgkmcnt(5)
	v_mul_u32_u24_sdwa v94, v13, v49 dst_sel:DWORD dst_unused:UNUSED_PAD src0_sel:WORD_0 src1_sel:DWORD
	v_mul_u32_u24_sdwa v95, v13, v49 dst_sel:DWORD dst_unused:UNUSED_PAD src0_sel:WORD_1 src1_sel:DWORD
	v_mul_u32_u24_sdwa v96, v14, v49 dst_sel:DWORD dst_unused:UNUSED_PAD src0_sel:WORD_0 src1_sel:DWORD
	v_mul_u32_u24_sdwa v97, v14, v49 dst_sel:DWORD dst_unused:UNUSED_PAD src0_sel:WORD_1 src1_sel:DWORD
	;; [unrolled: 2-line block ×4, first 2 shown]
	s_waitcnt lgkmcnt(4)
	v_mul_u32_u24_sdwa v102, v54, v49 dst_sel:DWORD dst_unused:UNUSED_PAD src0_sel:WORD_0 src1_sel:DWORD
	v_mul_u32_u24_sdwa v103, v54, v49 dst_sel:DWORD dst_unused:UNUSED_PAD src0_sel:WORD_1 src1_sel:DWORD
	v_mul_u32_u24_sdwa v104, v55, v49 dst_sel:DWORD dst_unused:UNUSED_PAD src0_sel:WORD_0 src1_sel:DWORD
	v_mul_u32_u24_sdwa v105, v55, v49 dst_sel:DWORD dst_unused:UNUSED_PAD src0_sel:WORD_1 src1_sel:DWORD
	s_waitcnt lgkmcnt(3)
	v_mul_u32_u24_sdwa v110, v58, v49 dst_sel:DWORD dst_unused:UNUSED_PAD src0_sel:WORD_0 src1_sel:DWORD
	v_mul_u32_u24_sdwa v111, v58, v49 dst_sel:DWORD dst_unused:UNUSED_PAD src0_sel:WORD_1 src1_sel:DWORD
	v_mul_u32_u24_sdwa v112, v59, v49 dst_sel:DWORD dst_unused:UNUSED_PAD src0_sel:WORD_0 src1_sel:DWORD
	v_mul_u32_u24_sdwa v113, v59, v49 dst_sel:DWORD dst_unused:UNUSED_PAD src0_sel:WORD_1 src1_sel:DWORD
	;; [unrolled: 2-line block ×3, first 2 shown]
	v_mul_u32_u24_sdwa v116, v61, v49 dst_sel:DWORD dst_unused:UNUSED_PAD src0_sel:WORD_0 src1_sel:DWORD
	s_waitcnt lgkmcnt(0)
	v_pk_fma_f16 v13, v9, v86, v83
	v_pk_fma_f16 v14, v10, v86, v79
	;; [unrolled: 1-line block ×8, first 2 shown]
	v_mul_u32_u24_sdwa v117, v61, v49 dst_sel:DWORD dst_unused:UNUSED_PAD src0_sel:WORD_1 src1_sel:DWORD
	v_pk_fma_f16 v58, v11, v90, v13
	v_pk_fma_f16 v59, v11, v91, v15
	;; [unrolled: 1-line block ×6, first 2 shown]
	ds_read_b128 v[13:16], v43 offset:352
	v_pk_fma_f16 v80, v11, v93, v9
	v_pk_fma_f16 v81, v12, v93, v10
	ds_read2_b64 v[9:12], v50 offset0:64 offset1:96
	v_mul_u32_u24_sdwa v106, v56, v49 dst_sel:DWORD dst_unused:UNUSED_PAD src0_sel:WORD_0 src1_sel:DWORD
	v_mul_u32_u24_sdwa v107, v56, v49 dst_sel:DWORD dst_unused:UNUSED_PAD src0_sel:WORD_1 src1_sel:DWORD
	v_mul_u32_u24_sdwa v108, v57, v49 dst_sel:DWORD dst_unused:UNUSED_PAD src0_sel:WORD_0 src1_sel:DWORD
	v_mul_u32_u24_sdwa v109, v57, v49 dst_sel:DWORD dst_unused:UNUSED_PAD src0_sel:WORD_1 src1_sel:DWORD
	ds_read_b128 v[54:57], v43 offset:368
	v_mul_u32_u24_sdwa v118, v62, v49 dst_sel:DWORD dst_unused:UNUSED_PAD src0_sel:WORD_0 src1_sel:DWORD
	v_mul_u32_u24_sdwa v62, v62, v49 dst_sel:DWORD dst_unused:UNUSED_PAD src0_sel:WORD_1 src1_sel:DWORD
	v_mul_u32_u24_sdwa v119, v63, v49 dst_sel:DWORD dst_unused:UNUSED_PAD src0_sel:WORD_0 src1_sel:DWORD
	v_mul_u32_u24_sdwa v63, v63, v49 dst_sel:DWORD dst_unused:UNUSED_PAD src0_sel:WORD_1 src1_sel:DWORD
	;; [unrolled: 2-line block ×5, first 2 shown]
	v_mul_u32_u24_sdwa v123, v75, v49 dst_sel:DWORD dst_unused:UNUSED_PAD src0_sel:WORD_0 src1_sel:DWORD
	s_waitcnt lgkmcnt(2)
	v_mul_u32_u24_sdwa v82, v13, v49 dst_sel:DWORD dst_unused:UNUSED_PAD src0_sel:WORD_0 src1_sel:DWORD
	v_mul_u32_u24_sdwa v83, v13, v49 dst_sel:DWORD dst_unused:UNUSED_PAD src0_sel:WORD_1 src1_sel:DWORD
	v_mul_u32_u24_sdwa v84, v14, v49 dst_sel:DWORD dst_unused:UNUSED_PAD src0_sel:WORD_0 src1_sel:DWORD
	v_mul_u32_u24_sdwa v85, v14, v49 dst_sel:DWORD dst_unused:UNUSED_PAD src0_sel:WORD_1 src1_sel:DWORD
	;; [unrolled: 2-line block ×4, first 2 shown]
	s_waitcnt lgkmcnt(1)
	v_pk_fma_f16 v13, v9, v94, v58
	v_pk_fma_f16 v14, v10, v94, v60
	;; [unrolled: 1-line block ×16, first 2 shown]
	s_waitcnt lgkmcnt(0)
	v_mul_u32_u24_sdwa v9, v54, v49 dst_sel:DWORD dst_unused:UNUSED_PAD src0_sel:WORD_0 src1_sel:DWORD
	v_mul_u32_u24_sdwa v16, v54, v49 dst_sel:DWORD dst_unused:UNUSED_PAD src0_sel:WORD_1 src1_sel:DWORD
	v_mul_u32_u24_sdwa v15, v55, v49 dst_sel:DWORD dst_unused:UNUSED_PAD src0_sel:WORD_0 src1_sel:DWORD
	v_mul_u32_u24_sdwa v14, v55, v49 dst_sel:DWORD dst_unused:UNUSED_PAD src0_sel:WORD_1 src1_sel:DWORD
	;; [unrolled: 2-line block ×4, first 2 shown]
	ds_read2_b64 v[54:57], v50 offset0:128 offset1:160
	v_mul_u32_u24_sdwa v75, v75, v49 dst_sel:DWORD dst_unused:UNUSED_PAD src0_sel:WORD_1 src1_sel:DWORD
	v_mul_u32_u24_sdwa v124, v76, v49 dst_sel:DWORD dst_unused:UNUSED_PAD src0_sel:WORD_0 src1_sel:DWORD
	v_mul_u32_u24_sdwa v76, v76, v49 dst_sel:DWORD dst_unused:UNUSED_PAD src0_sel:WORD_1 src1_sel:DWORD
	v_mul_u32_u24_sdwa v125, v77, v49 dst_sel:DWORD dst_unused:UNUSED_PAD src0_sel:WORD_0 src1_sel:DWORD
	v_mul_u32_u24_sdwa v77, v77, v49 dst_sel:DWORD dst_unused:UNUSED_PAD src0_sel:WORD_1 src1_sel:DWORD
	s_waitcnt lgkmcnt(0)
	v_pk_fma_f16 v60, v54, v102, v60
	v_pk_fma_f16 v61, v55, v102, v61
	;; [unrolled: 1-line block ×12, first 2 shown]
	ds_read_b128 v[58:61], v43 offset:384
	v_pk_fma_f16 v78, v56, v107, v78
	v_pk_fma_f16 v79, v57, v107, v79
	;; [unrolled: 1-line block ×4, first 2 shown]
	ds_read_b128 v[54:57], v43 offset:400
	s_waitcnt lgkmcnt(1)
	v_mul_u32_u24_sdwa v94, v58, v49 dst_sel:DWORD dst_unused:UNUSED_PAD src0_sel:WORD_0 src1_sel:DWORD
	v_mul_u32_u24_sdwa v95, v58, v49 dst_sel:DWORD dst_unused:UNUSED_PAD src0_sel:WORD_1 src1_sel:DWORD
	v_mul_u32_u24_sdwa v96, v59, v49 dst_sel:DWORD dst_unused:UNUSED_PAD src0_sel:WORD_0 src1_sel:DWORD
	v_mul_u32_u24_sdwa v97, v59, v49 dst_sel:DWORD dst_unused:UNUSED_PAD src0_sel:WORD_1 src1_sel:DWORD
	;; [unrolled: 2-line block ×4, first 2 shown]
	ds_read2_b64 v[58:61], v50 offset0:192 offset1:224
	s_waitcnt lgkmcnt(1)
	v_mul_u32_u24_sdwa v102, v55, v49 dst_sel:DWORD dst_unused:UNUSED_PAD src0_sel:WORD_0 src1_sel:DWORD
	v_mul_u32_u24_sdwa v103, v55, v49 dst_sel:DWORD dst_unused:UNUSED_PAD src0_sel:WORD_1 src1_sel:DWORD
	v_mul_u32_u24_sdwa v104, v56, v49 dst_sel:DWORD dst_unused:UNUSED_PAD src0_sel:WORD_0 src1_sel:DWORD
	v_mul_u32_u24_sdwa v105, v56, v49 dst_sel:DWORD dst_unused:UNUSED_PAD src0_sel:WORD_1 src1_sel:DWORD
	;; [unrolled: 2-line block ×3, first 2 shown]
	s_waitcnt lgkmcnt(0)
	v_pk_fma_f16 v80, v58, v110, v80
	v_pk_fma_f16 v81, v59, v110, v81
	;; [unrolled: 1-line block ×8, first 2 shown]
	v_mul_u32_u24_sdwa v92, v54, v49 dst_sel:DWORD dst_unused:UNUSED_PAD src0_sel:WORD_0 src1_sel:DWORD
	v_mul_u32_u24_sdwa v93, v54, v49 dst_sel:DWORD dst_unused:UNUSED_PAD src0_sel:WORD_1 src1_sel:DWORD
	ds_read2_b64 v[54:57], v51 offset1:32
	v_pk_fma_f16 v80, v60, v114, v80
	v_pk_fma_f16 v81, v61, v114, v81
	;; [unrolled: 1-line block ×8, first 2 shown]
	s_waitcnt lgkmcnt(0)
	v_pk_fma_f16 v60, v54, v118, v80
	v_pk_fma_f16 v61, v55, v118, v81
	;; [unrolled: 1-line block ×10, first 2 shown]
	ds_read_b128 v[58:61], v43 offset:416
	v_pk_fma_f16 v78, v56, v64, v78
	v_pk_fma_f16 v62, v57, v64, v62
	;; [unrolled: 1-line block ×6, first 2 shown]
	ds_read_b128 v[54:57], v43 offset:432
	s_waitcnt lgkmcnt(1)
	v_mul_u32_u24_sdwa v90, v58, v49 dst_sel:DWORD dst_unused:UNUSED_PAD src0_sel:WORD_0 src1_sel:DWORD
	v_mul_u32_u24_sdwa v91, v58, v49 dst_sel:DWORD dst_unused:UNUSED_PAD src0_sel:WORD_1 src1_sel:DWORD
	v_mul_u32_u24_sdwa v108, v59, v49 dst_sel:DWORD dst_unused:UNUSED_PAD src0_sel:WORD_0 src1_sel:DWORD
	v_mul_u32_u24_sdwa v109, v59, v49 dst_sel:DWORD dst_unused:UNUSED_PAD src0_sel:WORD_1 src1_sel:DWORD
	v_mul_u32_u24_sdwa v110, v60, v49 dst_sel:DWORD dst_unused:UNUSED_PAD src0_sel:WORD_0 src1_sel:DWORD
	v_mul_u32_u24_sdwa v111, v60, v49 dst_sel:DWORD dst_unused:UNUSED_PAD src0_sel:WORD_1 src1_sel:DWORD
	v_mul_u32_u24_sdwa v112, v61, v49 dst_sel:DWORD dst_unused:UNUSED_PAD src0_sel:WORD_0 src1_sel:DWORD
	v_mul_u32_u24_sdwa v113, v61, v49 dst_sel:DWORD dst_unused:UNUSED_PAD src0_sel:WORD_1 src1_sel:DWORD
	ds_read2_b64 v[58:61], v51 offset0:64 offset1:96
	s_waitcnt lgkmcnt(1)
	v_mul_u32_u24_sdwa v114, v57, v49 dst_sel:DWORD dst_unused:UNUSED_PAD src0_sel:WORD_0 src1_sel:DWORD
	v_mul_u32_u24_sdwa v115, v57, v49 dst_sel:DWORD dst_unused:UNUSED_PAD src0_sel:WORD_1 src1_sel:DWORD
	s_waitcnt lgkmcnt(0)
	v_pk_fma_f16 v63, v58, v122, v63
	v_pk_fma_f16 v81, v59, v122, v81
	;; [unrolled: 1-line block ×13, first 2 shown]
	v_mul_u32_u24_sdwa v76, v54, v49 dst_sel:DWORD dst_unused:UNUSED_PAD src0_sel:WORD_0 src1_sel:DWORD
	v_mul_u32_u24_sdwa v77, v54, v49 dst_sel:DWORD dst_unused:UNUSED_PAD src0_sel:WORD_1 src1_sel:DWORD
	v_mul_u32_u24_sdwa v78, v55, v49 dst_sel:DWORD dst_unused:UNUSED_PAD src0_sel:WORD_0 src1_sel:DWORD
	v_mul_u32_u24_sdwa v79, v55, v49 dst_sel:DWORD dst_unused:UNUSED_PAD src0_sel:WORD_1 src1_sel:DWORD
	;; [unrolled: 2-line block ×3, first 2 shown]
	ds_read2_b64 v[54:57], v51 offset0:128 offset1:160
	v_pk_fma_f16 v63, v60, v124, v63
	v_pk_fma_f16 v64, v60, v125, v64
	;; [unrolled: 1-line block ×3, first 2 shown]
	s_waitcnt lgkmcnt(0)
	v_pk_fma_f16 v60, v54, v82, v63
	v_pk_fma_f16 v61, v55, v82, v65
	;; [unrolled: 1-line block ×10, first 2 shown]
	ds_read_b128 v[58:61], v43 offset:448
	v_pk_fma_f16 v63, v56, v87, v63
	v_pk_fma_f16 v62, v57, v87, v62
	;; [unrolled: 1-line block ×6, first 2 shown]
	ds_read_b128 v[54:57], v43 offset:464
	s_waitcnt lgkmcnt(1)
	v_mul_u32_u24_sdwa v84, v58, v49 dst_sel:DWORD dst_unused:UNUSED_PAD src0_sel:WORD_0 src1_sel:DWORD
	v_mul_u32_u24_sdwa v85, v58, v49 dst_sel:DWORD dst_unused:UNUSED_PAD src0_sel:WORD_1 src1_sel:DWORD
	v_mul_u32_u24_sdwa v86, v59, v49 dst_sel:DWORD dst_unused:UNUSED_PAD src0_sel:WORD_0 src1_sel:DWORD
	v_mul_u32_u24_sdwa v87, v59, v49 dst_sel:DWORD dst_unused:UNUSED_PAD src0_sel:WORD_1 src1_sel:DWORD
	;; [unrolled: 2-line block ×4, first 2 shown]
	ds_read2_b64 v[58:61], v51 offset0:192 offset1:224
	s_waitcnt lgkmcnt(1)
	v_mul_u32_u24_sdwa v118, v55, v49 dst_sel:DWORD dst_unused:UNUSED_PAD src0_sel:WORD_1 src1_sel:DWORD
	v_mul_u32_u24_sdwa v119, v56, v49 dst_sel:DWORD dst_unused:UNUSED_PAD src0_sel:WORD_0 src1_sel:DWORD
	v_mul_u32_u24_sdwa v120, v56, v49 dst_sel:DWORD dst_unused:UNUSED_PAD src0_sel:WORD_1 src1_sel:DWORD
	v_mul_u32_u24_sdwa v121, v57, v49 dst_sel:DWORD dst_unused:UNUSED_PAD src0_sel:WORD_0 src1_sel:DWORD
	v_mul_u32_u24_sdwa v122, v57, v49 dst_sel:DWORD dst_unused:UNUSED_PAD src0_sel:WORD_1 src1_sel:DWORD
	s_waitcnt lgkmcnt(0)
	v_pk_fma_f16 v74, v58, v9, v74
	v_pk_fma_f16 v9, v59, v9, v75
	;; [unrolled: 1-line block ×16, first 2 shown]
	ds_read_b128 v[9:12], v43 offset:480
	ds_read_b128 v[13:16], v43 offset:496
	v_mul_u32_u24_sdwa v75, v54, v49 dst_sel:DWORD dst_unused:UNUSED_PAD src0_sel:WORD_0 src1_sel:DWORD
	v_mul_u32_u24_sdwa v82, v54, v49 dst_sel:DWORD dst_unused:UNUSED_PAD src0_sel:WORD_1 src1_sel:DWORD
	v_mul_u32_u24_sdwa v83, v55, v49 dst_sel:DWORD dst_unused:UNUSED_PAD src0_sel:WORD_0 src1_sel:DWORD
	s_waitcnt lgkmcnt(1)
	v_mul_u32_u24_sdwa v123, v9, v49 dst_sel:DWORD dst_unused:UNUSED_PAD src0_sel:WORD_0 src1_sel:DWORD
	v_mul_u32_u24_sdwa v124, v9, v49 dst_sel:DWORD dst_unused:UNUSED_PAD src0_sel:WORD_1 src1_sel:DWORD
	v_mov_b32_e32 v9, v39
	v_add_f32_e32 v39, v68, v72
	v_mul_u32_u24_sdwa v125, v10, v49 dst_sel:DWORD dst_unused:UNUSED_PAD src0_sel:WORD_0 src1_sel:DWORD
	v_mul_u32_u24_sdwa v126, v10, v49 dst_sel:DWORD dst_unused:UNUSED_PAD src0_sel:WORD_1 src1_sel:DWORD
	v_mul_u32_u24_sdwa v127, v11, v49 dst_sel:DWORD dst_unused:UNUSED_PAD src0_sel:WORD_0 src1_sel:DWORD
	v_mul_u32_u24_sdwa v128, v11, v49 dst_sel:DWORD dst_unused:UNUSED_PAD src0_sel:WORD_1 src1_sel:DWORD
	v_fmac_f32_e32 v39, v9, v6
	v_mov_b32_e32 v6, v38
	v_add_f32_e32 v38, v69, v73
	v_mul_u32_u24_sdwa v129, v12, v49 dst_sel:DWORD dst_unused:UNUSED_PAD src0_sel:WORD_0 src1_sel:DWORD
	v_mul_u32_u24_sdwa v130, v12, v49 dst_sel:DWORD dst_unused:UNUSED_PAD src0_sel:WORD_1 src1_sel:DWORD
	s_waitcnt lgkmcnt(0)
	v_mul_u32_u24_sdwa v131, v13, v49 dst_sel:DWORD dst_unused:UNUSED_PAD src0_sel:WORD_0 src1_sel:DWORD
	v_mul_u32_u24_sdwa v132, v13, v49 dst_sel:DWORD dst_unused:UNUSED_PAD src0_sel:WORD_1 src1_sel:DWORD
	v_fmac_f32_e32 v38, v6, v7
	v_mov_b32_e32 v6, v37
	v_add_f32_e32 v37, v66, v70
	v_mov_b32_e32 v7, v36
	v_mul_u32_u24_sdwa v133, v14, v49 dst_sel:DWORD dst_unused:UNUSED_PAD src0_sel:WORD_0 src1_sel:DWORD
	v_mul_u32_u24_sdwa v134, v14, v49 dst_sel:DWORD dst_unused:UNUSED_PAD src0_sel:WORD_1 src1_sel:DWORD
	v_mul_u32_u24_sdwa v135, v15, v49 dst_sel:DWORD dst_unused:UNUSED_PAD src0_sel:WORD_0 src1_sel:DWORD
	v_fmac_f32_e32 v37, v6, v8
	v_add_f32_e32 v6, v67, v71
	v_mul_u32_u24_sdwa v136, v15, v49 dst_sel:DWORD dst_unused:UNUSED_PAD src0_sel:WORD_1 src1_sel:DWORD
	v_mul_u32_u24_sdwa v137, v16, v49 dst_sel:DWORD dst_unused:UNUSED_PAD src0_sel:WORD_0 src1_sel:DWORD
	v_mul_u32_u24_sdwa v138, v16, v49 dst_sel:DWORD dst_unused:UNUSED_PAD src0_sel:WORD_1 src1_sel:DWORD
	v_mov_b32_e32 v36, v6
	v_fmac_f32_e32 v36, v7, v5
	ds_read2_b64 v[5:8], v52 offset1:32
	s_waitcnt lgkmcnt(0)
	v_pk_fma_f16 v9, v5, v94, v59
	v_pk_fma_f16 v10, v6, v94, v64
	;; [unrolled: 1-line block ×16, first 2 shown]
	ds_read2_b64 v[5:8], v52 offset0:64 offset1:96
	s_waitcnt lgkmcnt(0)
	v_pk_fma_f16 v54, v5, v92, v9
	v_pk_fma_f16 v55, v6, v92, v10
	;; [unrolled: 1-line block ×4, first 2 shown]
	ds_read2_b64 v[9:12], v52 offset0:128 offset1:160
	v_pk_fma_f16 v13, v5, v102, v13
	v_pk_fma_f16 v14, v6, v102, v14
	;; [unrolled: 1-line block ×7, first 2 shown]
	ds_read2_b64 v[13:16], v52 offset0:192 offset1:224
	v_pk_fma_f16 v55, v8, v104, v55
	v_pk_fma_f16 v56, v7, v105, v56
	;; [unrolled: 1-line block ×5, first 2 shown]
	ds_read2_b64 v[5:8], v53 offset1:32
	s_waitcnt lgkmcnt(2)
	v_pk_fma_f16 v62, v9, v90, v54
	v_pk_fma_f16 v63, v10, v90, v55
	v_pk_fma_f16 v64, v9, v91, v56
	v_pk_fma_f16 v65, v10, v91, v57
	v_pk_fma_f16 v58, v9, v108, v58
	v_pk_fma_f16 v59, v10, v108, v59
	v_pk_fma_f16 v9, v9, v109, v60
	v_pk_fma_f16 v10, v10, v109, v61
	v_pk_fma_f16 v62, v11, v110, v62
	v_pk_fma_f16 v63, v12, v110, v63
	v_pk_fma_f16 v64, v11, v111, v64
	v_pk_fma_f16 v65, v12, v111, v65
	v_pk_fma_f16 v66, v11, v112, v58
	v_pk_fma_f16 v67, v12, v112, v59
	v_pk_fma_f16 v68, v11, v113, v9
	v_pk_fma_f16 v69, v12, v113, v10
	ds_read2_b64 v[54:57], v53 offset0:64 offset1:96
	s_waitcnt lgkmcnt(2)
	v_pk_fma_f16 v62, v13, v76, v62
	v_pk_fma_f16 v63, v14, v76, v63
	v_pk_fma_f16 v64, v13, v77, v64
	v_pk_fma_f16 v65, v14, v77, v65
	v_pk_fma_f16 v66, v13, v78, v66
	v_pk_fma_f16 v67, v14, v78, v67
	v_pk_fma_f16 v13, v13, v79, v68
	v_pk_fma_f16 v14, v14, v79, v69
	v_pk_fma_f16 v62, v15, v80, v62
	v_pk_fma_f16 v63, v16, v80, v63
	v_pk_fma_f16 v64, v15, v81, v64
	v_pk_fma_f16 v65, v16, v81, v65
	v_pk_fma_f16 v66, v15, v114, v66
	v_pk_fma_f16 v67, v16, v114, v67
	v_pk_fma_f16 v13, v15, v115, v13
	v_pk_fma_f16 v14, v16, v115, v14
	ds_read2_b64 v[58:61], v53 offset0:128 offset1:160
	;; [unrolled: 18-line block ×3, first 2 shown]
	s_waitcnt lgkmcnt(2)
	v_pk_fma_f16 v8, v54, v75, v13
	v_pk_fma_f16 v13, v54, v82, v14
	;; [unrolled: 1-line block ×8, first 2 shown]
	s_waitcnt lgkmcnt(0)
	s_barrier
	buffer_gl0_inv
	s_load_dword s0, s[10:11], 0x4
	v_pk_fma_f16 v8, v56, v119, v8
	v_pk_fma_f16 v13, v56, v120, v13
	;; [unrolled: 1-line block ×32, first 2 shown]
	s_waitcnt lgkmcnt(0)
	s_lshl_b32 s0, s0, 6
	v_pk_fma_f16 v60, v11, v135, v8
	v_pk_fma_f16 v59, v11, v136, v13
	;; [unrolled: 1-line block ×8, first 2 shown]
	s_add_i32 s9, s0, s9
	s_cmp_ge_i32 s9, s30
	s_cbranch_scc0 .LBB0_17
; %bb.18:
	v_mov_b32_e32 v7, 32
	v_mov_b32_e32 v8, v30
.LBB0_19:
	v_cmp_lt_i32_e32 vcc_lo, v35, v7
	s_cmp_lg_u64 s[16:17], 0
	s_cselect_b32 s0, -1, 0
	s_cmp_eq_u32 s28, 0
	v_cndmask_b32_e32 v5, v8, v35, vcc_lo
	v_cmp_lt_i32_e32 vcc_lo, v34, v7
	s_cselect_b32 s1, -1, 0
	s_and_b32 s0, s1, s0
	v_lshlrev_b32_e32 v5, 2, v5
	v_cndmask_b32_e32 v11, v8, v34, vcc_lo
	v_cmp_lt_i32_e32 vcc_lo, v33, v7
	ds_bpermute_b32 v6, v5, v39
	ds_bpermute_b32 v9, v5, v38
	;; [unrolled: 1-line block ×4, first 2 shown]
	v_lshlrev_b32_e32 v11, 2, v11
	v_cndmask_b32_e32 v15, v8, v33, vcc_lo
	v_cmp_lt_i32_e32 vcc_lo, v32, v7
	v_lshlrev_b32_e32 v15, 2, v15
	s_waitcnt lgkmcnt(3)
	v_add_f32_e32 v6, v39, v6
	s_waitcnt lgkmcnt(2)
	v_add_f32_e32 v9, v38, v9
	;; [unrolled: 2-line block ×4, first 2 shown]
	ds_bpermute_b32 v12, v11, v6
	ds_bpermute_b32 v13, v11, v9
	;; [unrolled: 1-line block ×4, first 2 shown]
	s_waitcnt lgkmcnt(3)
	v_add_f32_e32 v6, v6, v12
	s_waitcnt lgkmcnt(2)
	v_add_f32_e32 v9, v9, v13
	s_waitcnt lgkmcnt(1)
	v_add_f32_e32 v10, v10, v14
	s_waitcnt lgkmcnt(0)
	v_add_f32_e32 v5, v5, v11
	ds_bpermute_b32 v11, v15, v6
	ds_bpermute_b32 v12, v15, v9
	;; [unrolled: 1-line block ×4, first 2 shown]
	v_cndmask_b32_e32 v15, v8, v32, vcc_lo
	v_cmp_lt_i32_e32 vcc_lo, v31, v7
	v_lshlrev_b32_e32 v15, 2, v15
	v_cndmask_b32_e32 v7, v8, v31, vcc_lo
	s_and_b32 vcc_lo, exec_lo, s0
	v_lshlrev_b32_e32 v7, 2, v7
	s_waitcnt lgkmcnt(3)
	v_add_f32_e32 v6, v6, v11
	s_waitcnt lgkmcnt(2)
	v_add_f32_e32 v9, v9, v12
	;; [unrolled: 2-line block ×4, first 2 shown]
	ds_bpermute_b32 v11, v15, v6
	ds_bpermute_b32 v12, v15, v9
	;; [unrolled: 1-line block ×4, first 2 shown]
	s_waitcnt lgkmcnt(3)
	v_add_f32_e32 v6, v6, v11
	s_waitcnt lgkmcnt(2)
	v_add_f32_e32 v8, v9, v12
	;; [unrolled: 2-line block ×4, first 2 shown]
	ds_bpermute_b32 v5, v7, v6
	ds_bpermute_b32 v11, v7, v8
	;; [unrolled: 1-line block ×4, first 2 shown]
	s_waitcnt lgkmcnt(3)
	v_add_f32_e32 v5, v6, v5
	s_waitcnt lgkmcnt(2)
	v_add_f32_e32 v6, v8, v11
	s_waitcnt lgkmcnt(1)
	v_add_f32_e32 v7, v9, v12
	s_waitcnt lgkmcnt(0)
	v_add_f32_e32 v8, v10, v13
	s_cbranch_vccz .LBB0_22
; %bb.20:
	v_add_nc_u32_e32 v9, s33, v27
	v_max_f32_e32 v13, v1, v1
	v_max_f32_e32 v14, v2, v2
	;; [unrolled: 1-line block ×4, first 2 shown]
	v_ashrrev_i32_e32 v10, 31, v9
	v_mov_b32_e32 v22, 0x10001
	v_lshlrev_b64 v[9:10], 2, v[9:10]
	v_add_co_u32 v9, vcc_lo, s16, v9
	v_add_co_ci_u32_e64 v10, null, s17, v10, vcc_lo
	global_load_dwordx4 v[9:12], v[9:10], off
	s_waitcnt vmcnt(0)
	v_max_f32_e32 v16, v9, v9
	v_max_f32_e32 v19, v10, v10
	;; [unrolled: 1-line block ×8, first 2 shown]
	v_sub_f32_e32 v18, v1, v13
	v_sub_f32_e32 v19, v2, v14
	;; [unrolled: 1-line block ×4, first 2 shown]
	v_mov_b32_e32 v1, v13
	v_sub_f32_e32 v9, v9, v13
	v_mov_b32_e32 v2, v14
	v_mov_b32_e32 v3, v15
	;; [unrolled: 1-line block ×3, first 2 shown]
	v_mul_f32_e32 v13, 0x3fb8aa3b, v18
	v_sub_f32_e32 v10, v10, v14
	v_mul_f32_e32 v14, 0x3fb8aa3b, v9
	v_sub_f32_e32 v11, v11, v15
	v_mul_f32_e32 v15, 0x3fb8aa3b, v19
	v_fma_f32 v29, 0x3fb8aa3b, v18, -v13
	v_rndne_f32_e32 v30, v13
	v_fma_f32 v31, 0x3fb8aa3b, v9, -v14
	v_rndne_f32_e32 v32, v14
	v_sub_f32_e32 v12, v12, v16
	v_fmac_f32_e32 v29, 0x32a5705f, v18
	v_sub_f32_e32 v13, v13, v30
	v_mul_f32_e32 v16, 0x3fb8aa3b, v10
	v_fma_f32 v33, 0x3fb8aa3b, v19, -v15
	v_rndne_f32_e32 v34, v15
	v_fmac_f32_e32 v31, 0x32a5705f, v9
	v_sub_f32_e32 v14, v14, v32
	v_add_f32_e32 v13, v13, v29
	v_mul_f32_e32 v23, 0x3fb8aa3b, v20
	v_fma_f32 v35, 0x3fb8aa3b, v10, -v16
	v_rndne_f32_e32 v36, v16
	v_fmac_f32_e32 v33, 0x32a5705f, v19
	v_sub_f32_e32 v15, v15, v34
	v_add_f32_e32 v14, v14, v31
	v_exp_f32_e32 v13, v13
	v_mul_f32_e32 v24, 0x3fb8aa3b, v11
	v_fma_f32 v37, 0x3fb8aa3b, v20, -v23
	v_rndne_f32_e32 v38, v23
	v_cvt_i32_f32_e32 v30, v30
	v_fmac_f32_e32 v35, 0x32a5705f, v10
	v_sub_f32_e32 v16, v16, v36
	v_add_f32_e32 v15, v15, v33
	v_exp_f32_e32 v14, v14
	v_mul_f32_e32 v25, 0x3fb8aa3b, v21
	v_fma_f32 v39, 0x3fb8aa3b, v11, -v24
	v_rndne_f32_e32 v40, v24
	v_cvt_i32_f32_e32 v32, v32
	v_fmac_f32_e32 v37, 0x32a5705f, v20
	v_sub_f32_e32 v23, v23, v38
	v_add_f32_e32 v16, v16, v35
	v_exp_f32_e32 v15, v15
	v_ldexp_f32 v13, v13, v30
	v_cmp_ngt_f32_e32 vcc_lo, 0xc2ce8ed0, v18
	v_mul_f32_e32 v26, 0x3fb8aa3b, v12
	v_fma_f32 v41, 0x3fb8aa3b, v21, -v25
	v_rndne_f32_e32 v42, v25
	v_cvt_i32_f32_e32 v34, v34
	v_fmac_f32_e32 v39, 0x32a5705f, v11
	v_sub_f32_e32 v24, v24, v40
	v_add_f32_e32 v23, v23, v37
	v_exp_f32_e32 v16, v16
	v_ldexp_f32 v14, v14, v32
	v_cndmask_b32_e32 v13, 0, v13, vcc_lo
	v_cmp_ngt_f32_e32 vcc_lo, 0xc2ce8ed0, v9
	v_fma_f32 v43, 0x3fb8aa3b, v12, -v26
	v_rndne_f32_e32 v44, v26
	v_cvt_i32_f32_e32 v36, v36
	v_fmac_f32_e32 v41, 0x32a5705f, v21
	v_sub_f32_e32 v25, v25, v42
	v_add_f32_e32 v24, v24, v39
	v_exp_f32_e32 v23, v23
	v_ldexp_f32 v15, v15, v34
	v_cndmask_b32_e32 v14, 0, v14, vcc_lo
	v_cmp_ngt_f32_e32 vcc_lo, 0xc2ce8ed0, v19
	v_cvt_i32_f32_e32 v38, v38
	v_fmac_f32_e32 v43, 0x32a5705f, v12
	v_sub_f32_e32 v26, v26, v44
	v_add_f32_e32 v25, v25, v41
	v_exp_f32_e32 v24, v24
	v_ldexp_f32 v16, v16, v36
	v_cndmask_b32_e32 v15, 0, v15, vcc_lo
	v_cmp_ngt_f32_e32 vcc_lo, 0xc2ce8ed0, v10
	v_cvt_i32_f32_e32 v40, v40
	v_add_f32_e32 v26, v26, v43
	v_exp_f32_e32 v25, v25
	v_ldexp_f32 v23, v23, v38
	v_cndmask_b32_e32 v16, 0, v16, vcc_lo
	v_cmp_ngt_f32_e32 vcc_lo, 0xc2ce8ed0, v20
	v_exp_f32_e32 v26, v26
	v_cvt_i32_f32_e32 v29, v42
	v_ldexp_f32 v24, v24, v40
	v_cvt_i32_f32_e32 v31, v44
	v_cndmask_b32_e32 v23, 0, v23, vcc_lo
	v_cmp_ngt_f32_e32 vcc_lo, 0xc2ce8ed0, v11
	v_ldexp_f32 v25, v25, v29
	v_cndmask_b32_e32 v24, 0, v24, vcc_lo
	v_cmp_ngt_f32_e32 vcc_lo, 0xc2ce8ed0, v21
	v_ldexp_f32 v26, v26, v31
	v_cndmask_b32_e32 v25, 0, v25, vcc_lo
	v_cmp_ngt_f32_e32 vcc_lo, 0xc2ce8ed0, v12
	v_cndmask_b32_e32 v26, 0, v26, vcc_lo
	v_cmp_nlt_f32_e32 vcc_lo, 0x42b17218, v18
	v_cndmask_b32_e32 v13, 0x7f800000, v13, vcc_lo
	v_cmp_nlt_f32_e32 vcc_lo, 0x42b17218, v9
	;; [unrolled: 2-line block ×3, first 2 shown]
	v_fmac_f32_e32 v9, v5, v13
	v_cndmask_b32_e32 v14, 0x7f800000, v15, vcc_lo
	v_cmp_nlt_f32_e32 vcc_lo, 0x42b17218, v10
	v_cvt_f16_f32_e32 v5, v13
	v_cndmask_b32_e32 v10, 0x7f800000, v16, vcc_lo
	v_cmp_nlt_f32_e32 vcc_lo, 0x42b17218, v20
	v_fmac_f32_e32 v10, v6, v14
	v_cndmask_b32_e32 v15, 0x7f800000, v23, vcc_lo
	v_cmp_nlt_f32_e32 vcc_lo, 0x42b17218, v11
	v_cvt_f16_f32_e32 v6, v14
	v_cndmask_b32_e32 v11, 0x7f800000, v24, vcc_lo
	v_cmp_nlt_f32_e32 vcc_lo, 0x42b17218, v21
	v_mul_u32_u24_sdwa v14, v6, v22 dst_sel:DWORD dst_unused:UNUSED_PAD src0_sel:WORD_0 src1_sel:DWORD
	v_mov_b32_e32 v6, v10
	v_fmac_f32_e32 v11, v7, v15
	v_cndmask_b32_e32 v16, 0x7f800000, v25, vcc_lo
	v_cmp_nlt_f32_e32 vcc_lo, 0x42b17218, v12
	v_cvt_f16_f32_e32 v7, v15
	v_pk_mul_f16 v59, v59, v14
	v_pk_mul_f16 v58, v58, v14
	v_cvt_f16_f32_e32 v13, v16
	v_cndmask_b32_e32 v12, 0x7f800000, v26, vcc_lo
	v_mul_u32_u24_sdwa v15, v7, v22 dst_sel:DWORD dst_unused:UNUSED_PAD src0_sel:WORD_0 src1_sel:DWORD
	v_mov_b32_e32 v7, v11
	v_mul_u32_u24_sdwa v13, v13, v22 dst_sel:DWORD dst_unused:UNUSED_PAD src0_sel:WORD_0 src1_sel:DWORD
	v_fmac_f32_e32 v12, v8, v16
	v_mul_u32_u24_sdwa v8, v5, v22 dst_sel:DWORD dst_unused:UNUSED_PAD src0_sel:WORD_0 src1_sel:DWORD
	v_mov_b32_e32 v5, v9
	v_pk_mul_f16 v57, v57, v15
	v_pk_mul_f16 v56, v56, v15
	;; [unrolled: 1-line block ×6, first 2 shown]
	v_mov_b32_e32 v8, v12
	s_mov_b32 s0, exec_lo
	v_cmpx_gt_i32_e64 s26, v17
	s_cbranch_execnz .LBB0_23
.LBB0_21:
	s_endpgm
.LBB0_22:
	v_mov_b32_e32 v12, v8
	v_mov_b32_e32 v11, v7
	;; [unrolled: 1-line block ×4, first 2 shown]
	s_mov_b32 s0, exec_lo
	v_cmpx_gt_i32_e64 s26, v17
	s_cbranch_execz .LBB0_21
.LBB0_23:
	s_load_dword s1, s[4:5], 0xd4
	v_mov_b32_e32 v15, 1.0
	s_waitcnt lgkmcnt(0)
	s_cmp_lg_u32 s1, 1
	s_cselect_b32 s3, -1, 0
	s_cmp_eq_u32 s1, 1
	s_cselect_b32 s2, -1, 0
	s_and_b32 vcc_lo, exec_lo, s3
	s_cbranch_vccnz .LBB0_25
; %bb.24:
	v_div_scale_f32 v13, null, v5, v5, 1.0
	v_rcp_f32_e32 v14, v13
	v_fma_f32 v15, -v13, v14, 1.0
	v_fmac_f32_e32 v14, v15, v14
	v_div_scale_f32 v15, vcc_lo, 1.0, v5, 1.0
	v_mul_f32_e32 v16, v15, v14
	v_fma_f32 v18, -v13, v16, v15
	v_fmac_f32_e32 v16, v18, v14
	v_fma_f32 v13, -v13, v16, v15
	v_div_fmas_f32 v13, v13, v14, v16
	v_div_fixup_f32 v15, v13, v5, 1.0
.LBB0_25:
	v_mad_u64_u32 v[13:14], null, s29, s26, v[17:18]
	v_mov_b32_e32 v17, 0
	v_cmp_eq_u32_e32 vcc_lo, 0, v0
	v_cvt_f32_f16_e32 v0, v60
	v_cvt_f32_f16_sdwa v19, v61 dst_sel:DWORD dst_unused:UNUSED_PAD src0_sel:WORD_1
	v_mul_lo_u32 v5, v13, s27
	v_mul_f32_e32 v19, v15, v19
	v_add3_u32 v5, s33, v27, v5
	v_mad_u64_u32 v[13:14], null, s1, v5, s[28:29]
	v_cvt_f32_f16_e32 v14, v61
	v_cvt_f32_f16_sdwa v5, v60 dst_sel:DWORD dst_unused:UNUSED_PAD src0_sel:WORD_1
	v_mul_f32_e32 v18, v15, v14
	v_lshl_add_u32 v16, v13, 7, v28
	v_lshlrev_b64 v[20:21], 2, v[16:17]
	v_mul_f32_e32 v16, v15, v0
	v_mul_f32_e32 v17, v15, v5
	v_add_co_u32 v14, s0, s20, v20
	v_add_co_ci_u32_e64 v15, null, s21, v21, s0
	s_and_b32 s0, vcc_lo, s3
	global_store_dwordx4 v[14:15], v[16:19], off
	s_and_saveexec_b32 s3, s0
	s_cbranch_execz .LBB0_27
; %bb.26:
	v_ashrrev_i32_e32 v14, 31, v13
	v_mov_b32_e32 v0, v1
	v_mov_b32_e32 v1, v9
	v_lshlrev_b64 v[14:15], 3, v[13:14]
	v_add_co_u32 v14, vcc_lo, s22, v14
	v_add_co_ci_u32_e64 v15, null, s23, v15, vcc_lo
	global_store_dwordx2 v[14:15], v[0:1], off
.LBB0_27:
	s_or_b32 exec_lo, exec_lo, s3
	v_cndmask_b32_e64 v5, 0, 1, s2
	v_mov_b32_e32 v1, 1.0
	s_andn2_b32 vcc_lo, exec_lo, s2
	s_cbranch_vccnz .LBB0_29
; %bb.28:
	v_div_scale_f32 v0, null, v6, v6, 1.0
	v_rcp_f32_e32 v1, v0
	v_fma_f32 v9, -v0, v1, 1.0
	v_fmac_f32_e32 v1, v9, v1
	v_div_scale_f32 v9, vcc_lo, 1.0, v6, 1.0
	v_mul_f32_e32 v14, v9, v1
	v_fma_f32 v15, -v0, v14, v9
	v_fmac_f32_e32 v14, v15, v1
	v_fma_f32 v0, -v0, v14, v9
	v_div_fmas_f32 v0, v0, v1, v14
	v_div_fixup_f32 v1, v0, v6, 1.0
.LBB0_29:
	v_add_nc_u32_e32 v0, s1, v13
	v_mov_b32_e32 v14, 0
	v_cvt_f32_f16_e32 v6, v59
	v_cvt_f32_f16_sdwa v9, v59 dst_sel:DWORD dst_unused:UNUSED_PAD src0_sel:WORD_1
	v_cvt_f32_f16_e32 v15, v58
	v_lshl_add_u32 v13, v0, 7, v28
	v_cvt_f32_f16_sdwa v16, v58 dst_sel:DWORD dst_unused:UNUSED_PAD src0_sel:WORD_1
	v_mul_f32_e32 v15, v1, v15
	v_lshlrev_b64 v[17:18], 2, v[13:14]
	v_mul_f32_e32 v13, v1, v6
	v_mul_f32_e32 v14, v1, v9
	;; [unrolled: 1-line block ×3, first 2 shown]
	v_add_co_u32 v17, vcc_lo, s20, v17
	v_add_co_ci_u32_e64 v18, null, s21, v18, vcc_lo
	global_store_dwordx4 v[17:18], v[13:16], off
	s_and_saveexec_b32 s2, s0
	s_cbranch_execz .LBB0_31
; %bb.30:
	v_ashrrev_i32_e32 v1, 31, v0
	v_mov_b32_e32 v9, v2
	v_lshlrev_b64 v[13:14], 3, v[0:1]
	v_add_co_u32 v13, vcc_lo, s22, v13
	v_add_co_ci_u32_e64 v14, null, s23, v14, vcc_lo
	global_store_dwordx2 v[13:14], v[9:10], off
.LBB0_31:
	s_or_b32 exec_lo, exec_lo, s2
	v_cmp_ne_u32_e32 vcc_lo, 1, v5
	v_mov_b32_e32 v1, 1.0
	s_cbranch_vccnz .LBB0_33
; %bb.32:
	v_div_scale_f32 v1, null, v7, v7, 1.0
	v_rcp_f32_e32 v2, v1
	v_fma_f32 v6, -v1, v2, 1.0
	v_fmac_f32_e32 v2, v6, v2
	v_div_scale_f32 v6, vcc_lo, 1.0, v7, 1.0
	v_mul_f32_e32 v9, v6, v2
	v_fma_f32 v10, -v1, v9, v6
	v_fmac_f32_e32 v9, v10, v2
	v_fma_f32 v1, -v1, v9, v6
	v_div_fmas_f32 v1, v1, v2, v9
	v_div_fixup_f32 v1, v1, v7, 1.0
.LBB0_33:
	v_add_nc_u32_e32 v0, s1, v0
	v_mov_b32_e32 v7, 0
	v_cvt_f32_f16_e32 v2, v57
	v_cvt_f32_f16_sdwa v9, v57 dst_sel:DWORD dst_unused:UNUSED_PAD src0_sel:WORD_1
	v_cvt_f32_f16_e32 v10, v56
	v_lshl_add_u32 v6, v0, 7, v28
	v_cvt_f32_f16_sdwa v16, v56 dst_sel:DWORD dst_unused:UNUSED_PAD src0_sel:WORD_1
	v_mul_f32_e32 v13, v1, v2
	v_mul_f32_e32 v14, v1, v9
	;; [unrolled: 1-line block ×3, first 2 shown]
	v_lshlrev_b64 v[6:7], 2, v[6:7]
	v_mul_f32_e32 v16, v1, v16
	v_add_co_u32 v1, vcc_lo, s20, v6
	v_add_co_ci_u32_e64 v2, null, s21, v7, vcc_lo
	global_store_dwordx4 v[1:2], v[13:16], off
	s_and_saveexec_b32 s2, s0
	s_cbranch_execz .LBB0_35
; %bb.34:
	v_ashrrev_i32_e32 v1, 31, v0
	v_mov_b32_e32 v10, v3
	v_lshlrev_b64 v[1:2], 3, v[0:1]
	v_add_co_u32 v1, vcc_lo, s22, v1
	v_add_co_ci_u32_e64 v2, null, s23, v2, vcc_lo
	global_store_dwordx2 v[1:2], v[10:11], off
.LBB0_35:
	s_or_b32 exec_lo, exec_lo, s2
	v_cmp_ne_u32_e32 vcc_lo, 1, v5
	v_mov_b32_e32 v1, 1.0
	s_cbranch_vccnz .LBB0_37
; %bb.36:
	v_div_scale_f32 v1, null, v8, v8, 1.0
	v_rcp_f32_e32 v2, v1
	v_fma_f32 v3, -v1, v2, 1.0
	v_fmac_f32_e32 v2, v3, v2
	v_div_scale_f32 v3, vcc_lo, 1.0, v8, 1.0
	v_mul_f32_e32 v5, v3, v2
	v_fma_f32 v6, -v1, v5, v3
	v_fmac_f32_e32 v5, v6, v2
	v_fma_f32 v1, -v1, v5, v3
	v_div_fmas_f32 v1, v1, v2, v5
	v_div_fixup_f32 v1, v1, v8, 1.0
.LBB0_37:
	v_add_nc_u32_e32 v0, s1, v0
	v_mov_b32_e32 v3, 0
	v_cvt_f32_f16_e32 v5, v55
	v_cvt_f32_f16_sdwa v6, v55 dst_sel:DWORD dst_unused:UNUSED_PAD src0_sel:WORD_1
	v_cvt_f32_f16_e32 v7, v54
	v_lshl_add_u32 v2, v0, 7, v28
	v_cvt_f32_f16_sdwa v8, v54 dst_sel:DWORD dst_unused:UNUSED_PAD src0_sel:WORD_1
	v_mul_f32_e32 v5, v1, v5
	v_mul_f32_e32 v6, v1, v6
	;; [unrolled: 1-line block ×3, first 2 shown]
	v_lshlrev_b64 v[2:3], 2, v[2:3]
	v_mul_f32_e32 v8, v1, v8
	v_add_co_u32 v1, vcc_lo, s20, v2
	v_add_co_ci_u32_e64 v2, null, s21, v3, vcc_lo
	global_store_dwordx4 v[1:2], v[5:8], off
	s_and_b32 exec_lo, exec_lo, s0
	s_cbranch_execz .LBB0_21
; %bb.38:
	v_ashrrev_i32_e32 v1, 31, v0
	v_mov_b32_e32 v11, v4
	v_lshlrev_b64 v[0:1], 3, v[0:1]
	v_add_co_u32 v0, vcc_lo, s22, v0
	v_add_co_ci_u32_e64 v1, null, s23, v1, vcc_lo
	global_store_dwordx2 v[0:1], v[11:12], off
	s_endpgm
	.section	.rodata,"a",@progbits
	.p2align	6, 0x0
	.amdhsa_kernel _ZL15flash_attn_tileILi192ELi128ELi2ELi16ELb0EEvPKcS1_S1_S1_S1_PKiPfP15HIP_vector_typeIfLj2EEffffjfiS5_IjLj3EEiiiiiiiiiiiliiliiiiil
		.amdhsa_group_segment_fixed_size 25600
		.amdhsa_private_segment_fixed_size 0
		.amdhsa_kernarg_size 464
		.amdhsa_user_sgpr_count 6
		.amdhsa_user_sgpr_private_segment_buffer 1
		.amdhsa_user_sgpr_dispatch_ptr 0
		.amdhsa_user_sgpr_queue_ptr 0
		.amdhsa_user_sgpr_kernarg_segment_ptr 1
		.amdhsa_user_sgpr_dispatch_id 0
		.amdhsa_user_sgpr_flat_scratch_init 0
		.amdhsa_user_sgpr_private_segment_size 0
		.amdhsa_wavefront_size32 1
		.amdhsa_uses_dynamic_stack 0
		.amdhsa_system_sgpr_private_segment_wavefront_offset 0
		.amdhsa_system_sgpr_workgroup_id_x 1
		.amdhsa_system_sgpr_workgroup_id_y 1
		.amdhsa_system_sgpr_workgroup_id_z 1
		.amdhsa_system_sgpr_workgroup_info 0
		.amdhsa_system_vgpr_workitem_id 1
		.amdhsa_next_free_vgpr 139
		.amdhsa_next_free_sgpr 40
		.amdhsa_reserve_vcc 1
		.amdhsa_reserve_flat_scratch 0
		.amdhsa_float_round_mode_32 0
		.amdhsa_float_round_mode_16_64 0
		.amdhsa_float_denorm_mode_32 3
		.amdhsa_float_denorm_mode_16_64 3
		.amdhsa_dx10_clamp 1
		.amdhsa_ieee_mode 1
		.amdhsa_fp16_overflow 0
		.amdhsa_workgroup_processor_mode 1
		.amdhsa_memory_ordered 1
		.amdhsa_forward_progress 1
		.amdhsa_shared_vgpr_count 0
		.amdhsa_exception_fp_ieee_invalid_op 0
		.amdhsa_exception_fp_denorm_src 0
		.amdhsa_exception_fp_ieee_div_zero 0
		.amdhsa_exception_fp_ieee_overflow 0
		.amdhsa_exception_fp_ieee_underflow 0
		.amdhsa_exception_fp_ieee_inexact 0
		.amdhsa_exception_int_div_zero 0
	.end_amdhsa_kernel
	.section	.text._ZL15flash_attn_tileILi192ELi128ELi2ELi16ELb0EEvPKcS1_S1_S1_S1_PKiPfP15HIP_vector_typeIfLj2EEffffjfiS5_IjLj3EEiiiiiiiiiiiliiliiiiil,"axG",@progbits,_ZL15flash_attn_tileILi192ELi128ELi2ELi16ELb0EEvPKcS1_S1_S1_S1_PKiPfP15HIP_vector_typeIfLj2EEffffjfiS5_IjLj3EEiiiiiiiiiiiliiliiiiil,comdat
.Lfunc_end0:
	.size	_ZL15flash_attn_tileILi192ELi128ELi2ELi16ELb0EEvPKcS1_S1_S1_S1_PKiPfP15HIP_vector_typeIfLj2EEffffjfiS5_IjLj3EEiiiiiiiiiiiliiliiiiil, .Lfunc_end0-_ZL15flash_attn_tileILi192ELi128ELi2ELi16ELb0EEvPKcS1_S1_S1_S1_PKiPfP15HIP_vector_typeIfLj2EEffffjfiS5_IjLj3EEiiiiiiiiiiiliiliiiiil
                                        ; -- End function
	.set _ZL15flash_attn_tileILi192ELi128ELi2ELi16ELb0EEvPKcS1_S1_S1_S1_PKiPfP15HIP_vector_typeIfLj2EEffffjfiS5_IjLj3EEiiiiiiiiiiiliiliiiiil.num_vgpr, 139
	.set _ZL15flash_attn_tileILi192ELi128ELi2ELi16ELb0EEvPKcS1_S1_S1_S1_PKiPfP15HIP_vector_typeIfLj2EEffffjfiS5_IjLj3EEiiiiiiiiiiiliiliiiiil.num_agpr, 0
	.set _ZL15flash_attn_tileILi192ELi128ELi2ELi16ELb0EEvPKcS1_S1_S1_S1_PKiPfP15HIP_vector_typeIfLj2EEffffjfiS5_IjLj3EEiiiiiiiiiiiliiliiiiil.numbered_sgpr, 40
	.set _ZL15flash_attn_tileILi192ELi128ELi2ELi16ELb0EEvPKcS1_S1_S1_S1_PKiPfP15HIP_vector_typeIfLj2EEffffjfiS5_IjLj3EEiiiiiiiiiiiliiliiiiil.num_named_barrier, 0
	.set _ZL15flash_attn_tileILi192ELi128ELi2ELi16ELb0EEvPKcS1_S1_S1_S1_PKiPfP15HIP_vector_typeIfLj2EEffffjfiS5_IjLj3EEiiiiiiiiiiiliiliiiiil.private_seg_size, 0
	.set _ZL15flash_attn_tileILi192ELi128ELi2ELi16ELb0EEvPKcS1_S1_S1_S1_PKiPfP15HIP_vector_typeIfLj2EEffffjfiS5_IjLj3EEiiiiiiiiiiiliiliiiiil.uses_vcc, 1
	.set _ZL15flash_attn_tileILi192ELi128ELi2ELi16ELb0EEvPKcS1_S1_S1_S1_PKiPfP15HIP_vector_typeIfLj2EEffffjfiS5_IjLj3EEiiiiiiiiiiiliiliiiiil.uses_flat_scratch, 0
	.set _ZL15flash_attn_tileILi192ELi128ELi2ELi16ELb0EEvPKcS1_S1_S1_S1_PKiPfP15HIP_vector_typeIfLj2EEffffjfiS5_IjLj3EEiiiiiiiiiiiliiliiiiil.has_dyn_sized_stack, 0
	.set _ZL15flash_attn_tileILi192ELi128ELi2ELi16ELb0EEvPKcS1_S1_S1_S1_PKiPfP15HIP_vector_typeIfLj2EEffffjfiS5_IjLj3EEiiiiiiiiiiiliiliiiiil.has_recursion, 0
	.set _ZL15flash_attn_tileILi192ELi128ELi2ELi16ELb0EEvPKcS1_S1_S1_S1_PKiPfP15HIP_vector_typeIfLj2EEffffjfiS5_IjLj3EEiiiiiiiiiiiliiliiiiil.has_indirect_call, 0
	.section	.AMDGPU.csdata,"",@progbits
; Kernel info:
; codeLenInByte = 31596
; TotalNumSgprs: 42
; NumVgprs: 139
; ScratchSize: 0
; MemoryBound: 0
; FloatMode: 240
; IeeeMode: 1
; LDSByteSize: 25600 bytes/workgroup (compile time only)
; SGPRBlocks: 0
; VGPRBlocks: 17
; NumSGPRsForWavesPerEU: 42
; NumVGPRsForWavesPerEU: 139
; Occupancy: 7
; WaveLimiterHint : 1
; COMPUTE_PGM_RSRC2:SCRATCH_EN: 0
; COMPUTE_PGM_RSRC2:USER_SGPR: 6
; COMPUTE_PGM_RSRC2:TRAP_HANDLER: 0
; COMPUTE_PGM_RSRC2:TGID_X_EN: 1
; COMPUTE_PGM_RSRC2:TGID_Y_EN: 1
; COMPUTE_PGM_RSRC2:TGID_Z_EN: 1
; COMPUTE_PGM_RSRC2:TIDIG_COMP_CNT: 1
	.section	.text._ZL25flash_attn_mask_to_KV_maxILi2EEvPK7__half2Piiii,"axG",@progbits,_ZL25flash_attn_mask_to_KV_maxILi2EEvPK7__half2Piiii,comdat
	.globl	_ZL25flash_attn_mask_to_KV_maxILi2EEvPK7__half2Piiii ; -- Begin function _ZL25flash_attn_mask_to_KV_maxILi2EEvPK7__half2Piiii
	.p2align	8
	.type	_ZL25flash_attn_mask_to_KV_maxILi2EEvPK7__half2Piiii,@function
_ZL25flash_attn_mask_to_KV_maxILi2EEvPK7__half2Piiii: ; @_ZL25flash_attn_mask_to_KV_maxILi2EEvPK7__half2Piiii
; %bb.0:
	s_load_dwordx4 s[8:11], s[4:5], 0x0
	s_mov_b32 s0, exec_lo
	v_cmpx_gt_u32_e32 32, v0
; %bb.1:
	v_lshlrev_b32_e32 v1, 2, v0
	v_mov_b32_e32 v2, 1
	ds_write_b32 v1, v2
; %bb.2:
	s_or_b32 exec_lo, exec_lo, s0
	s_clause 0x1
	s_load_dwordx4 s[12:15], s[4:5], 0x10
	s_load_dword s1, s[4:5], 0x20
	v_and_b32_e32 v1, 31, v0
	v_lshrrev_b32_e32 v3, 3, v0
	v_mov_b32_e32 v2, 0
	v_mov_b32_e32 v4, 0x204
	s_waitcnt lgkmcnt(0)
	v_lshlrev_b32_e32 v5, 2, v1
	s_barrier
	buffer_gl0_inv
	s_mul_i32 s0, s6, s13
	s_mul_i32 s2, s14, s7
	s_lshl_b32 s0, s0, 1
	s_add_i32 s2, s2, s0
	v_cmp_eq_u32_e64 s0, 0, v1
	s_ashr_i32 s3, s2, 31
	s_lshl_b64 s[4:5], s[2:3], 2
	s_add_u32 s3, s8, s4
	s_addc_u32 s4, s9, s5
	s_lshl_b32 s5, s12, 8
	s_branch .LBB1_4
.LBB1_3:                                ;   in Loop: Header=BB1_4 Depth=1
	s_or_b32 exec_lo, exec_lo, s8
	s_waitcnt lgkmcnt(0)
	s_barrier
	buffer_gl0_inv
	ds_read_b32 v1, v5
	s_waitcnt lgkmcnt(0)
	s_barrier
	buffer_gl0_inv
	v_cmp_ne_u32_e32 vcc_lo, 0, v1
	s_cmp_lg_u32 vcc_lo, exec_lo
	s_cselect_b32 s8, -1, 0
	s_and_b32 vcc_lo, exec_lo, s8
	s_cbranch_vccnz .LBB1_12
.LBB1_4:                                ; =>This Inner Loop Header: Depth=1
	s_mov_b32 s2, s5
	s_addk_i32 s5, 0xff00
	s_cmp_lt_i32 s5, 0
	s_cbranch_scc1 .LBB1_11
; %bb.5:                                ;   in Loop: Header=BB1_4 Depth=1
	s_lshr_b32 s8, s5, 1
	v_add_nc_u32_e32 v1, s8, v0
	v_lshlrev_b64 v[6:7], 2, v[1:2]
	v_add_co_u32 v6, vcc_lo, s3, v6
	v_add_co_ci_u32_e64 v7, null, s4, v7, vcc_lo
	global_load_dword v6, v[6:7], off
	s_waitcnt vmcnt(0)
	v_cmp_class_f16_e64 s8, v6, 0x204
	v_cmp_class_f16_sdwa s9, v6, v4 src0_sel:WORD_1 src1_sel:DWORD
	s_and_b32 s12, s8, s9
	s_mov_b32 s9, 0
	s_and_saveexec_b32 s8, s12
	s_cbranch_execz .LBB1_9
; %bb.6:                                ;   in Loop: Header=BB1_4 Depth=1
	v_add_nc_u32_e32 v6, s13, v1
	v_ashrrev_i32_e32 v7, 31, v6
	v_lshlrev_b64 v[6:7], 2, v[6:7]
	v_add_co_u32 v6, vcc_lo, s3, v6
	v_add_co_ci_u32_e64 v7, null, s4, v7, vcc_lo
	global_load_dword v1, v[6:7], off
	s_waitcnt vmcnt(0)
	v_cmp_class_f16_e64 s14, v1, 0x204
	s_and_saveexec_b32 s12, s14
; %bb.7:                                ;   in Loop: Header=BB1_4 Depth=1
	v_cmp_class_f16_sdwa s9, v1, v4 src0_sel:WORD_1 src1_sel:DWORD
	s_and_b32 s9, s9, exec_lo
; %bb.8:                                ;   in Loop: Header=BB1_4 Depth=1
	s_or_b32 exec_lo, exec_lo, s12
	s_and_b32 s9, s9, exec_lo
.LBB1_9:                                ;   in Loop: Header=BB1_4 Depth=1
	s_or_b32 exec_lo, exec_lo, s8
	v_cndmask_b32_e64 v1, 0, 1, s9
	s_mov_b32 s12, exec_lo
	v_cmp_ne_u32_e32 vcc_lo, 0, v1
	s_and_saveexec_b32 s8, s0
	s_cbranch_execz .LBB1_3
; %bb.10:                               ;   in Loop: Header=BB1_4 Depth=1
	s_cmp_eq_u32 vcc_lo, s12
	s_cselect_b32 s9, -1, 0
	v_cndmask_b32_e64 v1, 0, 1, s9
	ds_write_b32 v3, v1
	s_branch .LBB1_3
.LBB1_11:                               ;   in Loop: Header=BB1_4 Depth=1
	s_cbranch_execz .LBB1_4
.LBB1_12:
	s_mov_b32 s0, exec_lo
	v_cmpx_eq_u32_e32 0, v0
	s_cbranch_execz .LBB1_14
; %bb.13:
	s_mul_i32 s0, s1, s7
	v_mov_b32_e32 v0, 0
	s_add_i32 s0, s0, s6
	v_mov_b32_e32 v1, s2
	s_ashr_i32 s1, s0, 31
	s_lshl_b64 s[0:1], s[0:1], 2
	s_add_u32 s0, s10, s0
	s_addc_u32 s1, s11, s1
	global_store_dword v0, v1, s[0:1]
.LBB1_14:
	s_endpgm
	.section	.rodata,"a",@progbits
	.p2align	6, 0x0
	.amdhsa_kernel _ZL25flash_attn_mask_to_KV_maxILi2EEvPK7__half2Piiii
		.amdhsa_group_segment_fixed_size 128
		.amdhsa_private_segment_fixed_size 0
		.amdhsa_kernarg_size 288
		.amdhsa_user_sgpr_count 6
		.amdhsa_user_sgpr_private_segment_buffer 1
		.amdhsa_user_sgpr_dispatch_ptr 0
		.amdhsa_user_sgpr_queue_ptr 0
		.amdhsa_user_sgpr_kernarg_segment_ptr 1
		.amdhsa_user_sgpr_dispatch_id 0
		.amdhsa_user_sgpr_flat_scratch_init 0
		.amdhsa_user_sgpr_private_segment_size 0
		.amdhsa_wavefront_size32 1
		.amdhsa_uses_dynamic_stack 0
		.amdhsa_system_sgpr_private_segment_wavefront_offset 0
		.amdhsa_system_sgpr_workgroup_id_x 1
		.amdhsa_system_sgpr_workgroup_id_y 1
		.amdhsa_system_sgpr_workgroup_id_z 0
		.amdhsa_system_sgpr_workgroup_info 0
		.amdhsa_system_vgpr_workitem_id 0
		.amdhsa_next_free_vgpr 8
		.amdhsa_next_free_sgpr 16
		.amdhsa_reserve_vcc 1
		.amdhsa_reserve_flat_scratch 0
		.amdhsa_float_round_mode_32 0
		.amdhsa_float_round_mode_16_64 0
		.amdhsa_float_denorm_mode_32 3
		.amdhsa_float_denorm_mode_16_64 3
		.amdhsa_dx10_clamp 1
		.amdhsa_ieee_mode 1
		.amdhsa_fp16_overflow 0
		.amdhsa_workgroup_processor_mode 1
		.amdhsa_memory_ordered 1
		.amdhsa_forward_progress 1
		.amdhsa_shared_vgpr_count 0
		.amdhsa_exception_fp_ieee_invalid_op 0
		.amdhsa_exception_fp_denorm_src 0
		.amdhsa_exception_fp_ieee_div_zero 0
		.amdhsa_exception_fp_ieee_overflow 0
		.amdhsa_exception_fp_ieee_underflow 0
		.amdhsa_exception_fp_ieee_inexact 0
		.amdhsa_exception_int_div_zero 0
	.end_amdhsa_kernel
	.section	.text._ZL25flash_attn_mask_to_KV_maxILi2EEvPK7__half2Piiii,"axG",@progbits,_ZL25flash_attn_mask_to_KV_maxILi2EEvPK7__half2Piiii,comdat
.Lfunc_end1:
	.size	_ZL25flash_attn_mask_to_KV_maxILi2EEvPK7__half2Piiii, .Lfunc_end1-_ZL25flash_attn_mask_to_KV_maxILi2EEvPK7__half2Piiii
                                        ; -- End function
	.set _ZL25flash_attn_mask_to_KV_maxILi2EEvPK7__half2Piiii.num_vgpr, 8
	.set _ZL25flash_attn_mask_to_KV_maxILi2EEvPK7__half2Piiii.num_agpr, 0
	.set _ZL25flash_attn_mask_to_KV_maxILi2EEvPK7__half2Piiii.numbered_sgpr, 16
	.set _ZL25flash_attn_mask_to_KV_maxILi2EEvPK7__half2Piiii.num_named_barrier, 0
	.set _ZL25flash_attn_mask_to_KV_maxILi2EEvPK7__half2Piiii.private_seg_size, 0
	.set _ZL25flash_attn_mask_to_KV_maxILi2EEvPK7__half2Piiii.uses_vcc, 1
	.set _ZL25flash_attn_mask_to_KV_maxILi2EEvPK7__half2Piiii.uses_flat_scratch, 0
	.set _ZL25flash_attn_mask_to_KV_maxILi2EEvPK7__half2Piiii.has_dyn_sized_stack, 0
	.set _ZL25flash_attn_mask_to_KV_maxILi2EEvPK7__half2Piiii.has_recursion, 0
	.set _ZL25flash_attn_mask_to_KV_maxILi2EEvPK7__half2Piiii.has_indirect_call, 0
	.section	.AMDGPU.csdata,"",@progbits
; Kernel info:
; codeLenInByte = 500
; TotalNumSgprs: 18
; NumVgprs: 8
; ScratchSize: 0
; MemoryBound: 0
; FloatMode: 240
; IeeeMode: 1
; LDSByteSize: 128 bytes/workgroup (compile time only)
; SGPRBlocks: 0
; VGPRBlocks: 0
; NumSGPRsForWavesPerEU: 18
; NumVGPRsForWavesPerEU: 8
; Occupancy: 16
; WaveLimiterHint : 0
; COMPUTE_PGM_RSRC2:SCRATCH_EN: 0
; COMPUTE_PGM_RSRC2:USER_SGPR: 6
; COMPUTE_PGM_RSRC2:TRAP_HANDLER: 0
; COMPUTE_PGM_RSRC2:TGID_X_EN: 1
; COMPUTE_PGM_RSRC2:TGID_Y_EN: 1
; COMPUTE_PGM_RSRC2:TGID_Z_EN: 0
; COMPUTE_PGM_RSRC2:TIDIG_COMP_CNT: 0
	.section	.text._ZL33flash_attn_stream_k_fixup_uniformILi128ELi2ELi16EEvPfPK15HIP_vector_typeIfLj2EEiiiiiiS1_IjLj3EES5_S5_,"axG",@progbits,_ZL33flash_attn_stream_k_fixup_uniformILi128ELi2ELi16EEvPfPK15HIP_vector_typeIfLj2EEiiiiiiS1_IjLj3EES5_S5_,comdat
	.globl	_ZL33flash_attn_stream_k_fixup_uniformILi128ELi2ELi16EEvPfPK15HIP_vector_typeIfLj2EEiiiiiiS1_IjLj3EES5_S5_ ; -- Begin function _ZL33flash_attn_stream_k_fixup_uniformILi128ELi2ELi16EEvPfPK15HIP_vector_typeIfLj2EEiiiiiiS1_IjLj3EES5_S5_
	.p2align	8
	.type	_ZL33flash_attn_stream_k_fixup_uniformILi128ELi2ELi16EEvPfPK15HIP_vector_typeIfLj2EEiiiiiiS1_IjLj3EES5_S5_,@function
_ZL33flash_attn_stream_k_fixup_uniformILi128ELi2ELi16EEvPfPK15HIP_vector_typeIfLj2EEiiiiiiS1_IjLj3EES5_S5_: ; @_ZL33flash_attn_stream_k_fixup_uniformILi128ELi2ELi16EEvPfPK15HIP_vector_typeIfLj2EEiiiiiiS1_IjLj3EES5_S5_
; %bb.0:
	s_clause 0x2
	s_load_dwordx8 s[12:19], s[4:5], 0x1c
	s_load_dwordx4 s[20:23], s[4:5], 0x3c
	s_load_dwordx2 s[10:11], s[4:5], 0x10
	s_waitcnt lgkmcnt(0)
	s_mul_hi_u32 s0, s15, s6
	s_add_i32 s0, s6, s0
	s_lshr_b32 s0, s0, s16
	s_mul_i32 s1, s0, s17
	s_sub_i32 s2, s6, s1
	s_mul_hi_u32 s1, s2, s18
	s_add_i32 s1, s2, s1
	s_lshr_b32 s1, s1, s19
	s_mul_i32 s3, s1, s20
	s_sub_i32 s2, s2, s3
	s_mul_hi_u32 s3, s2, s21
	s_add_i32 s3, s2, s3
	s_lshr_b32 s3, s3, s22
	s_mul_i32 s9, s3, s23
	s_lshl_b32 s15, s3, 4
	s_sub_i32 s9, s2, s9
	s_lshl_b32 s2, s9, 1
	s_add_i32 s2, s2, s7
	s_cmp_lt_i32 s2, s10
	s_cselect_b32 s2, -1, 0
	s_add_i32 s3, s15, s8
	s_cmp_lt_i32 s3, s13
	s_cselect_b32 s3, -1, 0
	s_and_b32 s2, s2, s3
	s_andn2_b32 vcc_lo, exec_lo, s2
	s_cbranch_vccnz .LBB2_6
; %bb.1:
	s_mul_i32 s0, s0, s10
	s_mul_i32 s10, s1, s13
	s_add_i32 s0, s0, s7
	s_mul_i32 s0, s0, s11
	s_add_i32 s13, s0, s8
	s_load_dwordx4 s[0:3], s[4:5], 0x0
	s_add_i32 s4, s13, s10
	s_mul_i32 s5, s11, s9
	s_add_i32 s4, s4, s15
	s_lshl_b32 s5, s5, 8
	s_lshl_b32 s4, s4, 7
	;; [unrolled: 1-line block ×3, first 2 shown]
	s_add_i32 s5, s5, s4
	s_mul_i32 s4, s14, s6
	v_or_b32_e32 v1, s5, v0
	s_add_i32 s11, s4, s14
	v_ashrrev_i32_e32 v2, 31, v1
	v_lshlrev_b64 v[1:2], 2, v[1:2]
	s_waitcnt lgkmcnt(0)
	v_add_co_u32 v1, vcc_lo, s0, v1
	v_add_co_ci_u32_e64 v2, null, s1, v2, vcc_lo
	s_add_i32 s0, s10, s8
	s_lshl_b32 s1, s11, 5
	s_add_i32 s0, s0, s1
	global_load_dword v5, v[1:2], off
	s_sub_i32 s0, s0, 32
	s_ashr_i32 s1, s0, 31
	s_lshl_b64 s[0:1], s[0:1], 3
	s_add_u32 s0, s2, s0
	s_addc_u32 s1, s3, s1
	s_add_i32 s5, s11, -2
	s_load_dword s13, s[0:1], 0x4
	s_cmp_lt_i32 s5, s4
	s_cbranch_scc1 .LBB2_4
; %bb.2:
	s_lshl_b32 s16, s12, 7
	s_load_dword s15, s[0:1], 0x0
	s_ashr_i32 s17, s16, 31
	s_waitcnt lgkmcnt(0)
	v_mov_b32_e32 v6, s13
	s_lshl_b64 s[0:1], s[16:17], 2
	s_add_u32 s5, s2, s0
	s_addc_u32 s9, s3, s1
	s_add_i32 s6, s6, 1
	s_lshl_b32 s0, s7, 11
	s_lshl_b32 s1, s8, 7
	s_mul_i32 s6, s14, s6
	s_add_i32 s0, s1, s0
	s_lshl_b32 s1, s6, 12
	s_add_i32 s0, s0, s1
	s_lshl_b32 s1, s6, 5
	v_or_b32_e32 v0, s0, v0
	s_lshl_b32 s0, s12, 5
	s_add_i32 s1, s8, s1
	s_add_i32 s6, s11, -1
	s_add_i32 s0, s1, s0
	v_add_nc_u32_e32 v3, 0xffffe000, v0
	v_mov_b32_e32 v0, s15
	s_add_i32 s0, s0, s10
	s_sub_i32 s0, s0, 64
.LBB2_3:                                ; =>This Inner Loop Header: Depth=1
	v_ashrrev_i32_e32 v4, 31, v3
	s_ashr_i32 s1, s0, 31
	s_lshl_b64 s[10:11], s[0:1], 3
	s_add_u32 s10, s2, s10
	v_lshlrev_b64 v[7:8], 2, v[3:4]
	s_addc_u32 s11, s3, s11
	v_add_nc_u32_e32 v3, 0xfffff000, v3
	s_add_i32 s6, s6, -1
	s_sub_i32 s0, s0, 32
	s_cmp_le_i32 s6, s4
	v_add_co_u32 v7, vcc_lo, s5, v7
	v_add_co_ci_u32_e64 v8, null, s9, v8, vcc_lo
	s_load_dwordx2 s[10:11], s[10:11], 0x0
	global_load_dword v4, v[7:8], off
	v_max_f32_e32 v7, v0, v0
	s_waitcnt lgkmcnt(0)
	v_max_f32_e64 v8, s10, s10
	v_max_f32_e32 v7, v7, v8
	v_sub_f32_e32 v8, s10, v7
	v_sub_f32_e32 v0, v0, v7
	v_mul_f32_e32 v9, 0x3fb8aa3b, v8
	v_mul_f32_e32 v12, 0x3fb8aa3b, v0
	v_cmp_ngt_f32_e32 vcc_lo, 0xc2ce8ed0, v8
	v_fma_f32 v10, 0x3fb8aa3b, v8, -v9
	v_rndne_f32_e32 v11, v9
	v_fma_f32 v13, 0x3fb8aa3b, v0, -v12
	v_rndne_f32_e32 v14, v12
	v_fmac_f32_e32 v10, 0x32a5705f, v8
	v_sub_f32_e32 v9, v9, v11
	v_fmac_f32_e32 v13, 0x32a5705f, v0
	v_cvt_i32_f32_e32 v11, v11
	v_add_f32_e32 v9, v9, v10
	v_sub_f32_e32 v10, v12, v14
	v_exp_f32_e32 v9, v9
	v_add_f32_e32 v10, v10, v13
	v_exp_f32_e32 v10, v10
	v_ldexp_f32 v9, v9, v11
	v_cvt_i32_f32_e32 v11, v14
	v_cndmask_b32_e32 v9, 0, v9, vcc_lo
	v_cmp_nlt_f32_e32 vcc_lo, 0x42b17218, v8
	v_ldexp_f32 v10, v10, v11
	v_mov_b32_e32 v11, v6
	v_cndmask_b32_e32 v9, 0x7f800000, v9, vcc_lo
	v_cmp_ngt_f32_e32 vcc_lo, 0xc2ce8ed0, v0
	v_cndmask_b32_e32 v10, 0, v10, vcc_lo
	v_cmp_le_f32_e32 vcc_lo, 0xc1a00000, v8
	v_cndmask_b32_e32 v8, 0, v9, vcc_lo
	v_cmp_nlt_f32_e32 vcc_lo, 0x42b17218, v0
	s_waitcnt vmcnt(1)
	v_mov_b32_e32 v9, v5
	v_cndmask_b32_e32 v5, 0x7f800000, v10, vcc_lo
	v_mul_f32_e32 v10, s11, v8
	v_cmp_le_f32_e32 vcc_lo, 0xc1a00000, v0
	v_mov_b32_e32 v0, v7
	v_mov_b32_e32 v6, v10
	v_cndmask_b32_e32 v12, 0, v5, vcc_lo
	v_fmac_f32_e32 v6, v11, v12
	s_waitcnt vmcnt(0)
	v_mul_f32_e32 v5, v4, v8
	v_fmac_f32_e32 v5, v9, v12
	s_cbranch_scc0 .LBB2_3
	s_branch .LBB2_5
.LBB2_4:
	s_waitcnt lgkmcnt(0)
	v_mov_b32_e32 v6, s13
.LBB2_5:
	s_waitcnt vmcnt(0)
	v_div_scale_f32 v0, null, v6, v6, v5
	v_rcp_f32_e32 v3, v0
	v_fma_f32 v4, -v0, v3, 1.0
	v_fmac_f32_e32 v3, v4, v3
	v_div_scale_f32 v4, vcc_lo, v5, v6, v5
	v_mul_f32_e32 v7, v4, v3
	v_fma_f32 v8, -v0, v7, v4
	v_fmac_f32_e32 v7, v8, v3
	v_fma_f32 v0, -v0, v7, v4
	v_div_fmas_f32 v0, v0, v3, v7
	v_div_fixup_f32 v0, v0, v6, v5
	global_store_dword v[1:2], v0, off
.LBB2_6:
	s_endpgm
	.section	.rodata,"a",@progbits
	.p2align	6, 0x0
	.amdhsa_kernel _ZL33flash_attn_stream_k_fixup_uniformILi128ELi2ELi16EEvPfPK15HIP_vector_typeIfLj2EEiiiiiiS1_IjLj3EES5_S5_
		.amdhsa_group_segment_fixed_size 0
		.amdhsa_private_segment_fixed_size 0
		.amdhsa_kernarg_size 76
		.amdhsa_user_sgpr_count 6
		.amdhsa_user_sgpr_private_segment_buffer 1
		.amdhsa_user_sgpr_dispatch_ptr 0
		.amdhsa_user_sgpr_queue_ptr 0
		.amdhsa_user_sgpr_kernarg_segment_ptr 1
		.amdhsa_user_sgpr_dispatch_id 0
		.amdhsa_user_sgpr_flat_scratch_init 0
		.amdhsa_user_sgpr_private_segment_size 0
		.amdhsa_wavefront_size32 1
		.amdhsa_uses_dynamic_stack 0
		.amdhsa_system_sgpr_private_segment_wavefront_offset 0
		.amdhsa_system_sgpr_workgroup_id_x 1
		.amdhsa_system_sgpr_workgroup_id_y 1
		.amdhsa_system_sgpr_workgroup_id_z 1
		.amdhsa_system_sgpr_workgroup_info 0
		.amdhsa_system_vgpr_workitem_id 0
		.amdhsa_next_free_vgpr 15
		.amdhsa_next_free_sgpr 24
		.amdhsa_reserve_vcc 1
		.amdhsa_reserve_flat_scratch 0
		.amdhsa_float_round_mode_32 0
		.amdhsa_float_round_mode_16_64 0
		.amdhsa_float_denorm_mode_32 3
		.amdhsa_float_denorm_mode_16_64 3
		.amdhsa_dx10_clamp 1
		.amdhsa_ieee_mode 1
		.amdhsa_fp16_overflow 0
		.amdhsa_workgroup_processor_mode 1
		.amdhsa_memory_ordered 1
		.amdhsa_forward_progress 1
		.amdhsa_shared_vgpr_count 0
		.amdhsa_exception_fp_ieee_invalid_op 0
		.amdhsa_exception_fp_denorm_src 0
		.amdhsa_exception_fp_ieee_div_zero 0
		.amdhsa_exception_fp_ieee_overflow 0
		.amdhsa_exception_fp_ieee_underflow 0
		.amdhsa_exception_fp_ieee_inexact 0
		.amdhsa_exception_int_div_zero 0
	.end_amdhsa_kernel
	.section	.text._ZL33flash_attn_stream_k_fixup_uniformILi128ELi2ELi16EEvPfPK15HIP_vector_typeIfLj2EEiiiiiiS1_IjLj3EES5_S5_,"axG",@progbits,_ZL33flash_attn_stream_k_fixup_uniformILi128ELi2ELi16EEvPfPK15HIP_vector_typeIfLj2EEiiiiiiS1_IjLj3EES5_S5_,comdat
.Lfunc_end2:
	.size	_ZL33flash_attn_stream_k_fixup_uniformILi128ELi2ELi16EEvPfPK15HIP_vector_typeIfLj2EEiiiiiiS1_IjLj3EES5_S5_, .Lfunc_end2-_ZL33flash_attn_stream_k_fixup_uniformILi128ELi2ELi16EEvPfPK15HIP_vector_typeIfLj2EEiiiiiiS1_IjLj3EES5_S5_
                                        ; -- End function
	.set _ZL33flash_attn_stream_k_fixup_uniformILi128ELi2ELi16EEvPfPK15HIP_vector_typeIfLj2EEiiiiiiS1_IjLj3EES5_S5_.num_vgpr, 15
	.set _ZL33flash_attn_stream_k_fixup_uniformILi128ELi2ELi16EEvPfPK15HIP_vector_typeIfLj2EEiiiiiiS1_IjLj3EES5_S5_.num_agpr, 0
	.set _ZL33flash_attn_stream_k_fixup_uniformILi128ELi2ELi16EEvPfPK15HIP_vector_typeIfLj2EEiiiiiiS1_IjLj3EES5_S5_.numbered_sgpr, 24
	.set _ZL33flash_attn_stream_k_fixup_uniformILi128ELi2ELi16EEvPfPK15HIP_vector_typeIfLj2EEiiiiiiS1_IjLj3EES5_S5_.num_named_barrier, 0
	.set _ZL33flash_attn_stream_k_fixup_uniformILi128ELi2ELi16EEvPfPK15HIP_vector_typeIfLj2EEiiiiiiS1_IjLj3EES5_S5_.private_seg_size, 0
	.set _ZL33flash_attn_stream_k_fixup_uniformILi128ELi2ELi16EEvPfPK15HIP_vector_typeIfLj2EEiiiiiiS1_IjLj3EES5_S5_.uses_vcc, 1
	.set _ZL33flash_attn_stream_k_fixup_uniformILi128ELi2ELi16EEvPfPK15HIP_vector_typeIfLj2EEiiiiiiS1_IjLj3EES5_S5_.uses_flat_scratch, 0
	.set _ZL33flash_attn_stream_k_fixup_uniformILi128ELi2ELi16EEvPfPK15HIP_vector_typeIfLj2EEiiiiiiS1_IjLj3EES5_S5_.has_dyn_sized_stack, 0
	.set _ZL33flash_attn_stream_k_fixup_uniformILi128ELi2ELi16EEvPfPK15HIP_vector_typeIfLj2EEiiiiiiS1_IjLj3EES5_S5_.has_recursion, 0
	.set _ZL33flash_attn_stream_k_fixup_uniformILi128ELi2ELi16EEvPfPK15HIP_vector_typeIfLj2EEiiiiiiS1_IjLj3EES5_S5_.has_indirect_call, 0
	.section	.AMDGPU.csdata,"",@progbits
; Kernel info:
; codeLenInByte = 848
; TotalNumSgprs: 26
; NumVgprs: 15
; ScratchSize: 0
; MemoryBound: 0
; FloatMode: 240
; IeeeMode: 1
; LDSByteSize: 0 bytes/workgroup (compile time only)
; SGPRBlocks: 0
; VGPRBlocks: 1
; NumSGPRsForWavesPerEU: 26
; NumVGPRsForWavesPerEU: 15
; Occupancy: 16
; WaveLimiterHint : 0
; COMPUTE_PGM_RSRC2:SCRATCH_EN: 0
; COMPUTE_PGM_RSRC2:USER_SGPR: 6
; COMPUTE_PGM_RSRC2:TRAP_HANDLER: 0
; COMPUTE_PGM_RSRC2:TGID_X_EN: 1
; COMPUTE_PGM_RSRC2:TGID_Y_EN: 1
; COMPUTE_PGM_RSRC2:TGID_Z_EN: 1
; COMPUTE_PGM_RSRC2:TIDIG_COMP_CNT: 0
	.section	.text._ZL33flash_attn_stream_k_fixup_generalILi128ELi2ELi16EEvPfPK15HIP_vector_typeIfLj2EEiiiiS1_IjLj3EES5_S5_S5_,"axG",@progbits,_ZL33flash_attn_stream_k_fixup_generalILi128ELi2ELi16EEvPfPK15HIP_vector_typeIfLj2EEiiiiS1_IjLj3EES5_S5_S5_,comdat
	.globl	_ZL33flash_attn_stream_k_fixup_generalILi128ELi2ELi16EEvPfPK15HIP_vector_typeIfLj2EEiiiiS1_IjLj3EES5_S5_S5_ ; -- Begin function _ZL33flash_attn_stream_k_fixup_generalILi128ELi2ELi16EEvPfPK15HIP_vector_typeIfLj2EEiiiiS1_IjLj3EES5_S5_S5_
	.p2align	8
	.type	_ZL33flash_attn_stream_k_fixup_generalILi128ELi2ELi16EEvPfPK15HIP_vector_typeIfLj2EEiiiiS1_IjLj3EES5_S5_S5_,@function
_ZL33flash_attn_stream_k_fixup_generalILi128ELi2ELi16EEvPfPK15HIP_vector_typeIfLj2EEiiiiS1_IjLj3EES5_S5_S5_: ; @_ZL33flash_attn_stream_k_fixup_generalILi128ELi2ELi16EEvPfPK15HIP_vector_typeIfLj2EEiiiiS1_IjLj3EES5_S5_S5_
; %bb.0:
	s_clause 0x1
	s_load_dwordx4 s[0:3], s[4:5], 0x10
	s_load_dword s9, s[4:5], 0x50
	s_mov_b32 s16, 0
	s_waitcnt lgkmcnt(0)
	s_mul_hi_i32 s17, s3, s6
	s_mul_i32 s18, s3, s6
	s_cmp_lg_u64 s[16:17], 0
	s_cbranch_scc0 .LBB3_21
; %bb.1:
	s_add_u32 s10, s9, 0
	s_addc_u32 s11, 0, 0
	s_xor_b64 s[10:11], s[10:11], 0
	v_cvt_f32_u32_e32 v1, s10
	v_cvt_f32_u32_e32 v2, s11
	s_sub_u32 s14, 0, s10
	s_subb_u32 s15, 0, s11
	v_fmamk_f32 v1, v2, 0x4f800000, v1
	v_rcp_f32_e32 v1, v1
	v_mul_f32_e32 v1, 0x5f7ffffc, v1
	v_mul_f32_e32 v2, 0x2f800000, v1
	v_trunc_f32_e32 v2, v2
	v_fmamk_f32 v1, v2, 0xcf800000, v1
	v_cvt_u32_f32_e32 v2, v2
	v_cvt_u32_f32_e32 v1, v1
	v_readfirstlane_b32 s12, v2
	v_readfirstlane_b32 s13, v1
	s_mul_i32 s19, s14, s12
	s_mul_hi_u32 s21, s14, s13
	s_mul_i32 s20, s15, s13
	s_add_i32 s19, s21, s19
	s_mul_i32 s22, s14, s13
	s_add_i32 s19, s19, s20
	s_mul_hi_u32 s21, s13, s22
	s_mul_i32 s24, s13, s19
	s_mul_hi_u32 s23, s12, s22
	s_mul_i32 s20, s12, s22
	s_mul_hi_u32 s22, s13, s19
	s_add_u32 s21, s21, s24
	s_addc_u32 s22, 0, s22
	s_mul_hi_u32 s25, s12, s19
	s_add_u32 s20, s21, s20
	s_mul_i32 s19, s12, s19
	s_addc_u32 s20, s22, s23
	s_addc_u32 s21, s25, 0
	s_add_u32 s19, s20, s19
	s_addc_u32 s20, 0, s21
	s_add_u32 s13, s13, s19
	s_cselect_b32 s19, -1, 0
	s_mul_hi_u32 s21, s14, s13
	s_cmp_lg_u32 s19, 0
	s_mul_i32 s19, s14, s13
	s_addc_u32 s12, s12, s20
	s_mul_i32 s15, s15, s13
	s_mul_i32 s14, s14, s12
	s_mul_hi_u32 s20, s13, s19
	s_add_i32 s14, s21, s14
	s_mul_hi_u32 s21, s12, s19
	s_add_i32 s14, s14, s15
	s_mul_i32 s15, s12, s19
	s_mul_i32 s23, s13, s14
	s_mul_hi_u32 s22, s13, s14
	s_add_u32 s20, s20, s23
	s_addc_u32 s22, 0, s22
	s_mul_hi_u32 s19, s12, s14
	s_add_u32 s15, s20, s15
	s_mul_i32 s14, s12, s14
	s_addc_u32 s15, s22, s21
	s_addc_u32 s19, s19, 0
	s_add_u32 s14, s15, s14
	s_addc_u32 s15, 0, s19
	s_add_u32 s19, s13, s14
	s_cselect_b32 s13, -1, 0
	s_cmp_lg_u32 s13, 0
	s_addc_u32 s20, s12, s15
	s_ashr_i32 s12, s17, 31
	s_add_u32 s14, s18, s12
	s_mov_b32 s13, s12
	s_addc_u32 s15, s17, s12
	s_xor_b64 s[14:15], s[14:15], s[12:13]
	s_mul_i32 s21, s14, s20
	s_mul_hi_u32 s22, s14, s19
	s_mul_hi_u32 s17, s14, s20
	;; [unrolled: 1-line block ×3, first 2 shown]
	s_mul_i32 s19, s15, s19
	s_add_u32 s21, s22, s21
	s_addc_u32 s17, 0, s17
	s_mul_hi_u32 s23, s15, s20
	s_add_u32 s19, s21, s19
	s_mul_i32 s20, s15, s20
	s_addc_u32 s17, s17, s24
	s_addc_u32 s19, s23, 0
	s_add_u32 s17, s17, s20
	s_addc_u32 s19, 0, s19
	s_mul_hi_u32 s20, s10, s17
	s_mul_i32 s21, s10, s19
	s_mul_i32 s22, s11, s17
	s_add_i32 s20, s20, s21
	s_mul_i32 s21, s10, s17
	s_add_i32 s20, s20, s22
	s_sub_i32 s22, s15, s20
	s_sub_u32 s14, s14, s21
	s_cselect_b32 s21, -1, 0
	s_cmp_lg_u32 s21, 0
	s_subb_u32 s22, s22, s11
	s_sub_u32 s23, s14, s10
	s_cselect_b32 s24, -1, 0
	s_cmp_lg_u32 s24, 0
	s_subb_u32 s22, s22, 0
	s_cmp_ge_u32 s22, s11
	s_cselect_b32 s24, -1, 0
	s_cmp_ge_u32 s23, s10
	s_cselect_b32 s23, -1, 0
	s_cmp_eq_u32 s22, s11
	s_cselect_b32 s22, s23, s24
	s_add_u32 s23, s17, 1
	s_addc_u32 s24, s19, 0
	s_add_u32 s25, s17, 2
	s_addc_u32 s26, s19, 0
	s_cmp_lg_u32 s22, 0
	s_cselect_b32 s22, s25, s23
	s_cselect_b32 s23, s26, s24
	s_cmp_lg_u32 s21, 0
	s_subb_u32 s15, s15, s20
	s_cmp_ge_u32 s15, s11
	s_cselect_b32 s20, -1, 0
	s_cmp_ge_u32 s14, s10
	s_cselect_b32 s10, -1, 0
	s_cmp_eq_u32 s15, s11
	s_cselect_b32 s10, s10, s20
	s_cmp_lg_u32 s10, 0
	s_cselect_b32 s11, s23, s19
	s_cselect_b32 s10, s22, s17
	s_xor_b64 s[12:13], s[12:13], 0
	s_xor_b64 s[10:11], s[10:11], s[12:13]
	s_sub_u32 s10, s10, s12
	s_load_dwordx4 s[12:15], s[4:5], 0x44
	s_andn2_b32 vcc_lo, exec_lo, s16
	s_cbranch_vccnz .LBB3_3
.LBB3_2:
	v_cvt_f32_u32_e32 v1, s9
	s_sub_i32 s11, 0, s9
	v_rcp_iflag_f32_e32 v1, v1
	v_mul_f32_e32 v1, 0x4f7ffffe, v1
	v_cvt_u32_f32_e32 v1, v1
	v_readfirstlane_b32 s10, v1
	s_mul_i32 s11, s11, s10
	s_mul_hi_u32 s11, s10, s11
	s_add_i32 s10, s10, s11
	s_mul_hi_u32 s10, s18, s10
	s_mul_i32 s11, s10, s9
	s_waitcnt lgkmcnt(0)
	s_add_i32 s15, s10, 1
	s_sub_i32 s11, s18, s11
	s_sub_i32 s16, s11, s9
	s_cmp_ge_u32 s11, s9
	s_cselect_b32 s10, s15, s10
	s_cselect_b32 s11, s16, s11
	s_add_i32 s15, s10, 1
	s_cmp_ge_u32 s11, s9
	s_cselect_b32 s10, s15, s10
.LBB3_3:
	s_add_i32 s11, s6, 1
	s_mov_b32 s16, 0
	s_mul_hi_i32 s17, s3, s11
	s_mul_i32 s11, s3, s11
	s_cmp_lg_u64 s[16:17], 0
	s_cbranch_scc0 .LBB3_22
; %bb.4:
	s_add_u32 s18, s9, 0
	s_addc_u32 s19, 0, 0
	s_xor_b64 s[18:19], s[18:19], 0
	v_cvt_f32_u32_e32 v1, s18
	v_cvt_f32_u32_e32 v2, s19
	s_sub_u32 s21, 0, s18
	s_subb_u32 s22, 0, s19
	v_fmamk_f32 v1, v2, 0x4f800000, v1
	v_rcp_f32_e32 v1, v1
	v_mul_f32_e32 v1, 0x5f7ffffc, v1
	v_mul_f32_e32 v2, 0x2f800000, v1
	v_trunc_f32_e32 v2, v2
	v_fmamk_f32 v1, v2, 0xcf800000, v1
	v_cvt_u32_f32_e32 v2, v2
	v_cvt_u32_f32_e32 v1, v1
	s_waitcnt lgkmcnt(0)
	v_readfirstlane_b32 s15, v2
	v_readfirstlane_b32 s20, v1
	s_mul_i32 s23, s21, s15
	s_mul_hi_u32 s25, s21, s20
	s_mul_i32 s24, s22, s20
	s_add_i32 s23, s25, s23
	s_mul_i32 s26, s21, s20
	s_add_i32 s23, s23, s24
	s_mul_hi_u32 s25, s20, s26
	s_mul_i32 s28, s20, s23
	s_mul_hi_u32 s27, s15, s26
	s_mul_i32 s24, s15, s26
	s_mul_hi_u32 s26, s20, s23
	s_add_u32 s25, s25, s28
	s_addc_u32 s26, 0, s26
	s_mul_hi_u32 s29, s15, s23
	s_add_u32 s24, s25, s24
	s_mul_i32 s23, s15, s23
	s_addc_u32 s24, s26, s27
	s_addc_u32 s25, s29, 0
	s_add_u32 s23, s24, s23
	s_addc_u32 s24, 0, s25
	s_add_u32 s20, s20, s23
	s_cselect_b32 s23, -1, 0
	s_mul_hi_u32 s25, s21, s20
	s_cmp_lg_u32 s23, 0
	s_mul_i32 s23, s21, s20
	s_addc_u32 s15, s15, s24
	s_mul_i32 s22, s22, s20
	s_mul_i32 s21, s21, s15
	s_mul_hi_u32 s24, s20, s23
	s_add_i32 s21, s25, s21
	s_mul_hi_u32 s25, s15, s23
	s_add_i32 s21, s21, s22
	s_mul_i32 s22, s15, s23
	s_mul_i32 s27, s20, s21
	s_mul_hi_u32 s26, s20, s21
	s_add_u32 s24, s24, s27
	s_addc_u32 s26, 0, s26
	s_mul_hi_u32 s23, s15, s21
	s_add_u32 s22, s24, s22
	s_mul_i32 s21, s15, s21
	s_addc_u32 s22, s26, s25
	s_addc_u32 s23, s23, 0
	s_add_u32 s21, s22, s21
	s_addc_u32 s22, 0, s23
	s_add_u32 s24, s20, s21
	s_cselect_b32 s20, -1, 0
	s_cmp_lg_u32 s20, 0
	s_addc_u32 s15, s15, s22
	s_ashr_i32 s20, s17, 31
	s_add_u32 s22, s11, s20
	s_mov_b32 s21, s20
	s_addc_u32 s23, s17, s20
	s_xor_b64 s[22:23], s[22:23], s[20:21]
	s_mul_i32 s25, s22, s15
	s_mul_hi_u32 s26, s22, s24
	s_mul_hi_u32 s17, s22, s15
	;; [unrolled: 1-line block ×3, first 2 shown]
	s_mul_i32 s24, s23, s24
	s_add_u32 s25, s26, s25
	s_addc_u32 s17, 0, s17
	s_mul_hi_u32 s27, s23, s15
	s_add_u32 s24, s25, s24
	s_mul_i32 s15, s23, s15
	s_addc_u32 s17, s17, s28
	s_addc_u32 s24, s27, 0
	s_add_u32 s15, s17, s15
	s_addc_u32 s17, 0, s24
	s_mul_hi_u32 s24, s18, s15
	s_mul_i32 s25, s18, s17
	s_mul_i32 s26, s19, s15
	s_add_i32 s24, s24, s25
	s_mul_i32 s25, s18, s15
	s_add_i32 s24, s24, s26
	s_sub_i32 s26, s23, s24
	s_sub_u32 s22, s22, s25
	s_cselect_b32 s25, -1, 0
	s_cmp_lg_u32 s25, 0
	s_subb_u32 s26, s26, s19
	s_sub_u32 s27, s22, s18
	s_cselect_b32 s28, -1, 0
	s_cmp_lg_u32 s28, 0
	s_subb_u32 s26, s26, 0
	s_cmp_ge_u32 s26, s19
	s_cselect_b32 s28, -1, 0
	s_cmp_ge_u32 s27, s18
	s_cselect_b32 s27, -1, 0
	s_cmp_eq_u32 s26, s19
	s_cselect_b32 s26, s27, s28
	s_add_u32 s27, s15, 1
	s_addc_u32 s28, s17, 0
	s_add_u32 s29, s15, 2
	s_addc_u32 s30, s17, 0
	s_cmp_lg_u32 s26, 0
	s_cselect_b32 s26, s29, s27
	s_cselect_b32 s27, s30, s28
	s_cmp_lg_u32 s25, 0
	s_subb_u32 s23, s23, s24
	s_cmp_ge_u32 s23, s19
	s_cselect_b32 s24, -1, 0
	s_cmp_ge_u32 s22, s18
	s_cselect_b32 s18, -1, 0
	s_cmp_eq_u32 s23, s19
	s_cselect_b32 s18, s18, s24
	s_cmp_lg_u32 s18, 0
	s_cselect_b32 s19, s27, s17
	s_cselect_b32 s18, s26, s15
	s_xor_b64 s[20:21], s[20:21], 0
	s_xor_b64 s[18:19], s[18:19], s[20:21]
	s_sub_u32 s18, s18, s20
	s_andn2_b32 vcc_lo, exec_lo, s16
	s_cbranch_vccnz .LBB3_6
.LBB3_5:
	v_cvt_f32_u32_e32 v1, s9
	s_sub_i32 s16, 0, s9
	v_rcp_iflag_f32_e32 v1, v1
	v_mul_f32_e32 v1, 0x4f7ffffe, v1
	v_cvt_u32_f32_e32 v1, v1
	s_waitcnt lgkmcnt(0)
	v_readfirstlane_b32 s15, v1
	s_mul_i32 s16, s16, s15
	s_mul_hi_u32 s16, s15, s16
	s_add_i32 s15, s15, s16
	s_mul_hi_u32 s15, s11, s15
	s_mul_i32 s16, s15, s9
	s_sub_i32 s11, s11, s16
	s_add_i32 s16, s15, 1
	s_sub_i32 s17, s11, s9
	s_cmp_ge_u32 s11, s9
	s_cselect_b32 s15, s16, s15
	s_cselect_b32 s11, s17, s11
	s_add_i32 s16, s15, 1
	s_cmp_ge_u32 s11, s9
	s_cselect_b32 s18, s16, s15
.LBB3_6:
	s_cmp_eq_u32 s10, s18
	s_waitcnt lgkmcnt(0)
	s_mul_hi_u32 s11, s10, s12
	s_cselect_b32 s15, -1, 0
	s_add_i32 s11, s11, s10
	s_lshr_b32 s11, s11, s13
	s_mul_i32 s16, s11, s14
	s_cmp_eq_u32 s16, s10
	s_mul_hi_u32 s16, s18, s12
	s_cselect_b32 s17, -1, 0
	s_add_i32 s16, s16, s18
	s_lshr_b32 s16, s16, s13
	s_cmp_eq_u32 s11, s16
	s_mul_i32 s16, s16, s14
	s_cselect_b32 s19, -1, 0
	s_cmp_lg_u32 s16, s18
	s_cselect_b32 s16, -1, 0
	s_or_b32 s15, s15, s17
	s_and_b32 s16, s19, s16
	s_or_b32 s15, s15, s16
	s_and_b32 vcc_lo, exec_lo, s15
	s_cbranch_vccnz .LBB3_24
; %bb.7:
	s_clause 0x1
	s_load_dwordx8 s[20:27], s[4:5], 0x20
	s_load_dword s16, s[4:5], 0x40
	s_waitcnt lgkmcnt(0)
	s_mul_hi_u32 s15, s10, s20
	s_add_i32 s15, s15, s10
	s_lshr_b32 s15, s15, s21
	s_mul_i32 s17, s15, s22
	s_sub_i32 s17, s10, s17
	s_mul_hi_u32 s18, s17, s23
	s_add_i32 s18, s17, s18
	s_lshr_b32 s22, s18, s24
	s_mul_i32 s18, s22, s25
	s_sub_i32 s17, s17, s18
	s_mul_hi_u32 s18, s17, s26
	s_add_i32 s18, s17, s18
	s_lshr_b32 s18, s18, s27
	s_mul_i32 s16, s18, s16
	s_lshl_b32 s24, s18, 4
	s_sub_i32 s16, s17, s16
	s_mul_hi_u32 s17, s16, s12
	s_add_i32 s16, s16, s17
	s_lshr_b32 s23, s16, s13
	s_lshl_b32 s16, s23, 1
	s_add_i32 s16, s16, s7
	s_cmp_lt_i32 s16, s0
	s_cselect_b32 s16, -1, 0
	s_add_i32 s17, s24, s8
	s_cmp_lt_i32 s17, s2
	s_cselect_b32 s17, -1, 0
	s_and_b32 s16, s16, s17
	s_andn2_b32 vcc_lo, exec_lo, s16
	s_cbranch_vccnz .LBB3_24
; %bb.8:
	s_load_dwordx4 s[16:19], s[4:5], 0x0
	s_mov_b32 s4, 0
	s_lshl_b32 s20, s9, 7
	s_mov_b32 s21, s4
	s_lshl_b32 s5, s7, 4
	s_lshl_b64 s[20:21], s[20:21], 2
	s_mul_i32 s0, s15, s0
	s_add_i32 s15, s5, s8
	s_mul_i32 s22, s22, s2
	v_cvt_f32_u32_e32 v4, s9
	v_rcp_iflag_f32_e32 v4, v4
	s_waitcnt lgkmcnt(0)
	s_add_u32 s20, s18, s20
	s_addc_u32 s21, s19, s21
	s_add_i32 s0, s0, s7
	s_mul_i32 s0, s0, s1
	s_mul_i32 s1, s1, s23
	s_add_i32 s0, s0, s8
	s_lshl_b32 s1, s1, 8
	s_add_i32 s0, s0, s22
	v_mul_f32_e32 v4, 0x4f7ffffe, v4
	s_add_i32 s0, s0, s24
	s_lshl_b32 s0, s0, 7
	s_add_i32 s1, s1, s0
	s_lshl_b32 s0, s6, 5
	v_or_b32_e32 v1, s1, v0
	s_add_i32 s0, s15, s0
	v_lshl_or_b32 v0, s15, 7, v0
	s_ashr_i32 s1, s0, 31
	v_cvt_u32_f32_e32 v4, v4
	v_ashrrev_i32_e32 v2, 31, v1
	s_lshl_b64 s[0:1], s[0:1], 3
	s_add_u32 s0, s18, s0
	s_addc_u32 s1, s19, s1
	v_lshlrev_b64 v[1:2], 2, v[1:2]
	s_load_dwordx2 s[0:1], s[0:1], 0x0
	s_add_i32 s8, s6, -1
	s_sub_i32 s2, 0, s9
	v_add_co_u32 v1, vcc_lo, s16, v1
	v_add_co_ci_u32_e64 v2, null, s17, v2, vcc_lo
	global_load_dword v3, v[1:2], off
	s_waitcnt lgkmcnt(0)
	v_mov_b32_e32 v5, s1
	v_mov_b32_e32 v6, s0
.LBB3_9:                                ; =>This Inner Loop Header: Depth=1
	s_mul_hi_i32 s5, s8, s3
	s_mul_i32 s6, s8, s3
	s_cmp_lg_u64 s[4:5], 0
	s_mov_b32 s7, -1
                                        ; implicit-def: $sgpr0_sgpr1
	s_cbranch_scc0 .LBB3_11
; %bb.10:                               ;   in Loop: Header=BB3_9 Depth=1
	s_add_u32 s0, s9, 0
	s_addc_u32 s1, 0, 0
	s_xor_b64 s[0:1], s[0:1], 0
	v_cvt_f32_u32_e32 v7, s0
	v_cvt_f32_u32_e32 v8, s1
	s_sub_u32 s17, 0, s0
	s_subb_u32 s22, 0, s1
	v_fmac_f32_e32 v7, 0x4f800000, v8
	v_rcp_f32_e32 v7, v7
	v_mul_f32_e32 v7, 0x5f7ffffc, v7
	v_mul_f32_e32 v8, 0x2f800000, v7
	v_trunc_f32_e32 v8, v8
	v_fmac_f32_e32 v7, 0xcf800000, v8
	v_cvt_u32_f32_e32 v8, v8
	v_cvt_u32_f32_e32 v7, v7
	v_readfirstlane_b32 s7, v8
	v_readfirstlane_b32 s16, v7
	s_mul_i32 s23, s17, s7
	s_mul_hi_u32 s25, s17, s16
	s_mul_i32 s24, s22, s16
	s_add_i32 s23, s25, s23
	s_mul_i32 s26, s17, s16
	s_add_i32 s23, s23, s24
	s_mul_hi_u32 s25, s16, s26
	s_mul_i32 s28, s16, s23
	s_mul_hi_u32 s27, s7, s26
	s_mul_i32 s24, s7, s26
	s_mul_hi_u32 s26, s16, s23
	s_add_u32 s25, s25, s28
	s_addc_u32 s26, 0, s26
	s_mul_hi_u32 s29, s7, s23
	s_add_u32 s24, s25, s24
	s_mul_i32 s23, s7, s23
	s_addc_u32 s24, s26, s27
	s_addc_u32 s25, s29, 0
	s_add_u32 s23, s24, s23
	s_addc_u32 s24, 0, s25
	s_add_u32 s16, s16, s23
	s_cselect_b32 s23, -1, 0
	s_mul_hi_u32 s25, s17, s16
	s_cmp_lg_u32 s23, 0
	s_mul_i32 s23, s17, s16
	s_addc_u32 s7, s7, s24
	s_mul_i32 s22, s22, s16
	s_mul_i32 s17, s17, s7
	s_mul_hi_u32 s24, s16, s23
	s_add_i32 s17, s25, s17
	s_mul_hi_u32 s25, s7, s23
	s_add_i32 s17, s17, s22
	s_mul_i32 s22, s7, s23
	s_mul_i32 s27, s16, s17
	s_mul_hi_u32 s26, s16, s17
	s_add_u32 s24, s24, s27
	s_addc_u32 s26, 0, s26
	s_mul_hi_u32 s23, s7, s17
	s_add_u32 s22, s24, s22
	s_mul_i32 s17, s7, s17
	s_addc_u32 s22, s26, s25
	s_addc_u32 s23, s23, 0
	s_add_u32 s17, s22, s17
	s_addc_u32 s22, 0, s23
	s_add_u32 s24, s16, s17
	s_cselect_b32 s16, -1, 0
	s_cmp_lg_u32 s16, 0
	s_addc_u32 s7, s7, s22
	s_ashr_i32 s16, s5, 31
	s_add_u32 s22, s6, s16
	s_mov_b32 s17, s16
	s_addc_u32 s23, s5, s16
	s_xor_b64 s[22:23], s[22:23], s[16:17]
	s_mul_i32 s25, s22, s7
	s_mul_hi_u32 s26, s22, s24
	s_mul_hi_u32 s5, s22, s7
	;; [unrolled: 1-line block ×3, first 2 shown]
	s_mul_i32 s24, s23, s24
	s_add_u32 s25, s26, s25
	s_addc_u32 s5, 0, s5
	s_mul_hi_u32 s27, s23, s7
	s_add_u32 s24, s25, s24
	s_mul_i32 s7, s23, s7
	s_addc_u32 s5, s5, s28
	s_addc_u32 s24, s27, 0
	s_add_u32 s5, s5, s7
	s_addc_u32 s7, 0, s24
	s_mul_hi_u32 s24, s0, s5
	s_mul_i32 s25, s0, s7
	s_mul_i32 s26, s1, s5
	s_add_i32 s24, s24, s25
	s_mul_i32 s25, s0, s5
	s_add_i32 s24, s24, s26
	s_sub_i32 s26, s23, s24
	s_sub_u32 s22, s22, s25
	s_cselect_b32 s25, -1, 0
	s_cmp_lg_u32 s25, 0
	s_subb_u32 s26, s26, s1
	s_sub_u32 s27, s22, s0
	s_cselect_b32 s28, -1, 0
	s_cmp_lg_u32 s28, 0
	s_subb_u32 s26, s26, 0
	s_cmp_ge_u32 s26, s1
	s_cselect_b32 s28, -1, 0
	s_cmp_ge_u32 s27, s0
	s_cselect_b32 s27, -1, 0
	s_cmp_eq_u32 s26, s1
	s_cselect_b32 s26, s27, s28
	s_add_u32 s27, s5, 1
	s_addc_u32 s28, s7, 0
	s_add_u32 s29, s5, 2
	s_addc_u32 s30, s7, 0
	s_cmp_lg_u32 s26, 0
	s_cselect_b32 s26, s29, s27
	s_cselect_b32 s27, s30, s28
	s_cmp_lg_u32 s25, 0
	s_subb_u32 s23, s23, s24
	s_cmp_ge_u32 s23, s1
	s_cselect_b32 s24, -1, 0
	s_cmp_ge_u32 s22, s0
	s_cselect_b32 s0, -1, 0
	s_cmp_eq_u32 s23, s1
	s_cselect_b32 s0, s0, s24
	s_cmp_lg_u32 s0, 0
	s_cselect_b32 s1, s27, s7
	s_cselect_b32 s0, s26, s5
	s_xor_b64 s[16:17], s[16:17], 0
	s_mov_b32 s7, 0
	s_xor_b64 s[0:1], s[0:1], s[16:17]
	s_sub_u32 s0, s0, s16
.LBB3_11:                               ;   in Loop: Header=BB3_9 Depth=1
	s_andn2_b32 vcc_lo, exec_lo, s7
	s_cbranch_vccnz .LBB3_13
; %bb.12:                               ;   in Loop: Header=BB3_9 Depth=1
	v_readfirstlane_b32 s0, v4
	s_mul_i32 s1, s2, s0
	s_mul_hi_u32 s1, s0, s1
	s_add_i32 s0, s0, s1
	s_mul_hi_u32 s0, s6, s0
	s_mul_i32 s1, s0, s9
	s_add_i32 s5, s0, 1
	s_sub_i32 s1, s6, s1
	s_sub_i32 s6, s1, s9
	s_cmp_ge_u32 s1, s9
	s_cselect_b32 s0, s5, s0
	s_cselect_b32 s1, s6, s1
	s_add_i32 s5, s0, 1
	s_cmp_ge_u32 s1, s9
	s_cselect_b32 s0, s5, s0
.LBB3_13:                               ;   in Loop: Header=BB3_9 Depth=1
	s_cmp_lg_u32 s10, s0
	s_mov_b32 s6, -1
                                        ; implicit-def: $sgpr5
                                        ; implicit-def: $vgpr8
                                        ; implicit-def: $vgpr7
                                        ; implicit-def: $vgpr9
                                        ; implicit-def: $sgpr1
                                        ; implicit-def: $sgpr16
	s_cbranch_scc0 .LBB3_18
; %bb.14:                               ;   in Loop: Header=BB3_9 Depth=1
	s_add_i32 s1, s8, s9
	s_mov_b32 s7, s4
	s_lshl_b32 s1, s1, 5
	s_mov_b32 s16, s10
	s_add_i32 s6, s1, s15
	s_mul_hi_u32 s1, s0, s12
	s_lshl_b64 s[6:7], s[6:7], 3
	s_add_u32 s6, s18, s6
	s_addc_u32 s7, s19, s7
	s_add_i32 s1, s1, s0
	s_lshr_b32 s1, s1, s13
	s_mul_i32 s5, s1, s14
	s_cmp_eq_u32 s5, s0
	s_cselect_b32 s5, -1, 0
	s_cmp_lt_u32 s1, s11
	s_cselect_b32 s1, -1, 0
	s_or_b32 s1, s1, s5
	s_mov_b32 s5, -1
	s_and_b32 vcc_lo, exec_lo, s1
	s_mov_b32 s1, s8
	s_cbranch_vccnz .LBB3_16
; %bb.15:                               ;   in Loop: Header=BB3_9 Depth=1
	s_add_i32 s1, s8, -1
	s_mov_b32 s5, 0
	s_mov_b32 s16, s0
.LBB3_16:                               ;   in Loop: Header=BB3_9 Depth=1
	v_lshl_add_u32 v7, s8, 12, v0
	s_load_dwordx2 s[6:7], s[6:7], 0x0
	v_ashrrev_i32_e32 v8, 31, v7
	v_lshlrev_b64 v[7:8], 2, v[7:8]
	v_add_co_u32 v7, vcc_lo, s20, v7
	v_add_co_ci_u32_e64 v8, null, s21, v8, vcc_lo
	s_waitcnt lgkmcnt(0)
	v_max_f32_e64 v9, s6, s6
	global_load_dword v8, v[7:8], off
	v_max_f32_e32 v7, v6, v6
	v_max_f32_e32 v7, v7, v9
	v_sub_f32_e32 v9, s6, v7
	v_sub_f32_e32 v10, v6, v7
	v_mul_f32_e32 v11, 0x3fb8aa3b, v9
	v_mul_f32_e32 v12, 0x3fb8aa3b, v10
	v_cmp_ngt_f32_e32 vcc_lo, 0xc2ce8ed0, v9
	v_fma_f32 v13, 0x3fb8aa3b, v9, -v11
	v_rndne_f32_e32 v14, v11
	v_fma_f32 v15, 0x3fb8aa3b, v10, -v12
	v_rndne_f32_e32 v16, v12
	v_fmac_f32_e32 v13, 0x32a5705f, v9
	v_sub_f32_e32 v11, v11, v14
	v_fmac_f32_e32 v15, 0x32a5705f, v10
	v_sub_f32_e32 v12, v12, v16
	v_add_f32_e32 v11, v11, v13
	v_cvt_i32_f32_e32 v13, v14
	v_add_f32_e32 v12, v12, v15
	v_cvt_i32_f32_e32 v14, v16
	v_exp_f32_e32 v11, v11
	v_exp_f32_e32 v12, v12
	v_ldexp_f32 v11, v11, v13
	v_ldexp_f32 v12, v12, v14
	v_cndmask_b32_e32 v11, 0, v11, vcc_lo
	v_cmp_ngt_f32_e32 vcc_lo, 0xc2ce8ed0, v10
	v_cndmask_b32_e32 v12, 0, v12, vcc_lo
	v_cmp_nlt_f32_e32 vcc_lo, 0x42b17218, v9
	v_cndmask_b32_e32 v11, 0x7f800000, v11, vcc_lo
	v_cmp_nlt_f32_e32 vcc_lo, 0x42b17218, v10
	v_cndmask_b32_e32 v12, 0x7f800000, v12, vcc_lo
	v_cmp_le_f32_e32 vcc_lo, 0xc1a00000, v9
	v_cndmask_b32_e32 v9, 0, v11, vcc_lo
	v_cmp_le_f32_e32 vcc_lo, 0xc1a00000, v10
	v_cndmask_b32_e32 v10, 0, v12, vcc_lo
	s_waitcnt vmcnt(0)
	v_mul_f32_e32 v8, v8, v9
	v_mul_f32_e32 v9, s7, v9
	v_fmac_f32_e32 v8, v3, v10
	v_fmac_f32_e32 v9, v5, v10
	s_cbranch_execz .LBB3_19
.LBB3_17:                               ;   in Loop: Header=BB3_9 Depth=1
	s_andn2_b32 vcc_lo, exec_lo, s5
	s_cbranch_vccnz .LBB3_20
	s_branch .LBB3_23
.LBB3_18:                               ;   in Loop: Header=BB3_9 Depth=1
	s_andn2_b32 vcc_lo, exec_lo, s6
	s_cbranch_vccnz .LBB3_17
.LBB3_19:                               ;   in Loop: Header=BB3_9 Depth=1
	v_mov_b32_e32 v9, v5
	v_mov_b32_e32 v7, v6
	s_waitcnt vmcnt(0)
	v_mov_b32_e32 v8, v3
	s_add_i32 s1, s8, -1
	s_mov_b32 s16, s10
	s_cbranch_execz .LBB3_23
.LBB3_20:                               ;   in Loop: Header=BB3_9 Depth=1
	v_mov_b32_e32 v5, v9
	v_mov_b32_e32 v6, v7
	s_waitcnt vmcnt(0)
	v_mov_b32_e32 v3, v8
	s_mov_b32 s10, s16
	s_mov_b32 s8, s1
	s_branch .LBB3_9
.LBB3_21:
                                        ; implicit-def: $sgpr10_sgpr11
	s_load_dwordx4 s[12:15], s[4:5], 0x44
	s_branch .LBB3_2
.LBB3_22:
                                        ; implicit-def: $sgpr18_sgpr19
	s_branch .LBB3_5
.LBB3_23:
	v_div_scale_f32 v0, null, v9, v9, v8
	s_waitcnt vmcnt(0)
	v_rcp_f32_e32 v3, v0
	v_fma_f32 v4, -v0, v3, 1.0
	v_fmac_f32_e32 v3, v4, v3
	v_div_scale_f32 v4, vcc_lo, v8, v9, v8
	v_mul_f32_e32 v5, v4, v3
	v_fma_f32 v6, -v0, v5, v4
	v_fmac_f32_e32 v5, v6, v3
	v_fma_f32 v0, -v0, v5, v4
	v_div_fmas_f32 v0, v0, v3, v5
	v_div_fixup_f32 v0, v0, v9, v8
	global_store_dword v[1:2], v0, off
.LBB3_24:
	s_endpgm
	.section	.rodata,"a",@progbits
	.p2align	6, 0x0
	.amdhsa_kernel _ZL33flash_attn_stream_k_fixup_generalILi128ELi2ELi16EEvPfPK15HIP_vector_typeIfLj2EEiiiiS1_IjLj3EES5_S5_S5_
		.amdhsa_group_segment_fixed_size 0
		.amdhsa_private_segment_fixed_size 0
		.amdhsa_kernarg_size 336
		.amdhsa_user_sgpr_count 6
		.amdhsa_user_sgpr_private_segment_buffer 1
		.amdhsa_user_sgpr_dispatch_ptr 0
		.amdhsa_user_sgpr_queue_ptr 0
		.amdhsa_user_sgpr_kernarg_segment_ptr 1
		.amdhsa_user_sgpr_dispatch_id 0
		.amdhsa_user_sgpr_flat_scratch_init 0
		.amdhsa_user_sgpr_private_segment_size 0
		.amdhsa_wavefront_size32 1
		.amdhsa_uses_dynamic_stack 0
		.amdhsa_system_sgpr_private_segment_wavefront_offset 0
		.amdhsa_system_sgpr_workgroup_id_x 1
		.amdhsa_system_sgpr_workgroup_id_y 1
		.amdhsa_system_sgpr_workgroup_id_z 1
		.amdhsa_system_sgpr_workgroup_info 0
		.amdhsa_system_vgpr_workitem_id 0
		.amdhsa_next_free_vgpr 17
		.amdhsa_next_free_sgpr 31
		.amdhsa_reserve_vcc 1
		.amdhsa_reserve_flat_scratch 0
		.amdhsa_float_round_mode_32 0
		.amdhsa_float_round_mode_16_64 0
		.amdhsa_float_denorm_mode_32 3
		.amdhsa_float_denorm_mode_16_64 3
		.amdhsa_dx10_clamp 1
		.amdhsa_ieee_mode 1
		.amdhsa_fp16_overflow 0
		.amdhsa_workgroup_processor_mode 1
		.amdhsa_memory_ordered 1
		.amdhsa_forward_progress 1
		.amdhsa_shared_vgpr_count 0
		.amdhsa_exception_fp_ieee_invalid_op 0
		.amdhsa_exception_fp_denorm_src 0
		.amdhsa_exception_fp_ieee_div_zero 0
		.amdhsa_exception_fp_ieee_overflow 0
		.amdhsa_exception_fp_ieee_underflow 0
		.amdhsa_exception_fp_ieee_inexact 0
		.amdhsa_exception_int_div_zero 0
	.end_amdhsa_kernel
	.section	.text._ZL33flash_attn_stream_k_fixup_generalILi128ELi2ELi16EEvPfPK15HIP_vector_typeIfLj2EEiiiiS1_IjLj3EES5_S5_S5_,"axG",@progbits,_ZL33flash_attn_stream_k_fixup_generalILi128ELi2ELi16EEvPfPK15HIP_vector_typeIfLj2EEiiiiS1_IjLj3EES5_S5_S5_,comdat
.Lfunc_end3:
	.size	_ZL33flash_attn_stream_k_fixup_generalILi128ELi2ELi16EEvPfPK15HIP_vector_typeIfLj2EEiiiiS1_IjLj3EES5_S5_S5_, .Lfunc_end3-_ZL33flash_attn_stream_k_fixup_generalILi128ELi2ELi16EEvPfPK15HIP_vector_typeIfLj2EEiiiiS1_IjLj3EES5_S5_S5_
                                        ; -- End function
	.set _ZL33flash_attn_stream_k_fixup_generalILi128ELi2ELi16EEvPfPK15HIP_vector_typeIfLj2EEiiiiS1_IjLj3EES5_S5_S5_.num_vgpr, 17
	.set _ZL33flash_attn_stream_k_fixup_generalILi128ELi2ELi16EEvPfPK15HIP_vector_typeIfLj2EEiiiiS1_IjLj3EES5_S5_S5_.num_agpr, 0
	.set _ZL33flash_attn_stream_k_fixup_generalILi128ELi2ELi16EEvPfPK15HIP_vector_typeIfLj2EEiiiiS1_IjLj3EES5_S5_S5_.numbered_sgpr, 31
	.set _ZL33flash_attn_stream_k_fixup_generalILi128ELi2ELi16EEvPfPK15HIP_vector_typeIfLj2EEiiiiS1_IjLj3EES5_S5_S5_.num_named_barrier, 0
	.set _ZL33flash_attn_stream_k_fixup_generalILi128ELi2ELi16EEvPfPK15HIP_vector_typeIfLj2EEiiiiS1_IjLj3EES5_S5_S5_.private_seg_size, 0
	.set _ZL33flash_attn_stream_k_fixup_generalILi128ELi2ELi16EEvPfPK15HIP_vector_typeIfLj2EEiiiiS1_IjLj3EES5_S5_S5_.uses_vcc, 1
	.set _ZL33flash_attn_stream_k_fixup_generalILi128ELi2ELi16EEvPfPK15HIP_vector_typeIfLj2EEiiiiS1_IjLj3EES5_S5_S5_.uses_flat_scratch, 0
	.set _ZL33flash_attn_stream_k_fixup_generalILi128ELi2ELi16EEvPfPK15HIP_vector_typeIfLj2EEiiiiS1_IjLj3EES5_S5_S5_.has_dyn_sized_stack, 0
	.set _ZL33flash_attn_stream_k_fixup_generalILi128ELi2ELi16EEvPfPK15HIP_vector_typeIfLj2EEiiiiS1_IjLj3EES5_S5_S5_.has_recursion, 0
	.set _ZL33flash_attn_stream_k_fixup_generalILi128ELi2ELi16EEvPfPK15HIP_vector_typeIfLj2EEiiiiS1_IjLj3EES5_S5_S5_.has_indirect_call, 0
	.section	.AMDGPU.csdata,"",@progbits
; Kernel info:
; codeLenInByte = 2944
; TotalNumSgprs: 33
; NumVgprs: 17
; ScratchSize: 0
; MemoryBound: 0
; FloatMode: 240
; IeeeMode: 1
; LDSByteSize: 0 bytes/workgroup (compile time only)
; SGPRBlocks: 0
; VGPRBlocks: 2
; NumSGPRsForWavesPerEU: 33
; NumVGPRsForWavesPerEU: 17
; Occupancy: 16
; WaveLimiterHint : 0
; COMPUTE_PGM_RSRC2:SCRATCH_EN: 0
; COMPUTE_PGM_RSRC2:USER_SGPR: 6
; COMPUTE_PGM_RSRC2:TRAP_HANDLER: 0
; COMPUTE_PGM_RSRC2:TGID_X_EN: 1
; COMPUTE_PGM_RSRC2:TGID_Y_EN: 1
; COMPUTE_PGM_RSRC2:TGID_Z_EN: 1
; COMPUTE_PGM_RSRC2:TIDIG_COMP_CNT: 0
	.section	.text._ZL26flash_attn_combine_resultsILi128EEvPKfPK15HIP_vector_typeIfLj2EEPfi,"axG",@progbits,_ZL26flash_attn_combine_resultsILi128EEvPKfPK15HIP_vector_typeIfLj2EEPfi,comdat
	.globl	_ZL26flash_attn_combine_resultsILi128EEvPKfPK15HIP_vector_typeIfLj2EEPfi ; -- Begin function _ZL26flash_attn_combine_resultsILi128EEvPKfPK15HIP_vector_typeIfLj2EEPfi
	.p2align	8
	.type	_ZL26flash_attn_combine_resultsILi128EEvPKfPK15HIP_vector_typeIfLj2EEPfi,@function
_ZL26flash_attn_combine_resultsILi128EEvPKfPK15HIP_vector_typeIfLj2EEPfi: ; @_ZL26flash_attn_combine_resultsILi128EEvPKfPK15HIP_vector_typeIfLj2EEPfi
; %bb.0:
	s_clause 0x3
	s_load_dwordx2 s[2:3], s[4:5], 0x20
	s_load_dword s9, s[4:5], 0x18
	s_load_dwordx4 s[12:15], s[4:5], 0x0
	s_load_dwordx2 s[10:11], s[4:5], 0x10
	v_lshlrev_b32_e32 v5, 2, v0
	s_mov_b32 s4, exec_lo
	s_waitcnt lgkmcnt(0)
	s_mul_i32 s0, s2, s8
	s_lshl_b32 s1, s9, 1
	s_add_i32 s0, s0, s6
	s_mul_i32 s6, s0, s3
	s_add_i32 s6, s6, s7
	s_mul_i32 s2, s6, s9
	v_cmpx_gt_i32_e64 s1, v0
	s_cbranch_execz .LBB4_3
; %bb.1:
	s_ashr_i32 s3, s2, 31
	v_add_nc_u32_e32 v3, 0, v5
	s_lshl_b64 s[16:17], s[2:3], 3
	v_mov_b32_e32 v4, v0
	s_add_u32 s0, s14, s16
	s_addc_u32 s3, s15, s17
	v_add_co_u32 v1, s0, s0, v5
	v_add_co_ci_u32_e64 v2, null, s3, 0, s0
	s_mov_b32 s3, 0
	.p2align	6
.LBB4_2:                                ; =>This Inner Loop Header: Depth=1
	global_load_dword v6, v[1:2], off
	v_add_nc_u32_e32 v4, 0x80, v4
	v_add_co_u32 v1, vcc_lo, 0x200, v1
	v_add_co_ci_u32_e64 v2, null, 0, v2, vcc_lo
	v_cmp_le_i32_e64 s0, s1, v4
	s_or_b32 s3, s0, s3
	s_waitcnt vmcnt(0)
	ds_write_b32 v3, v6
	v_add_nc_u32_e32 v3, 0x200, v3
	s_andn2_b32 exec_lo, exec_lo, s3
	s_cbranch_execnz .LBB4_2
.LBB4_3:
	s_or_b32 exec_lo, exec_lo, s4
	v_mov_b32_e32 v1, 0
	s_waitcnt lgkmcnt(0)
	s_barrier
	buffer_gl0_inv
	s_cmp_lt_i32 s9, 2
	ds_read_b32 v6, v1
	s_cbranch_scc1 .LBB4_11
; %bb.4:
	s_add_i32 s1, s9, -2
	s_add_i32 s0, s9, -1
	s_cmp_lt_u32 s1, 7
	s_cbranch_scc1 .LBB4_8
; %bb.5:
	s_mov_b32 s3, 0
	s_add_i32 s1, 0, 8
	s_and_b32 s4, s0, -8
	.p2align	6
.LBB4_6:                                ; =>This Inner Loop Header: Depth=1
	v_mov_b32_e32 v9, s1
	s_mov_b32 s5, s3
	s_add_i32 s3, s3, 8
	s_add_i32 s1, s1, 64
	s_cmp_eq_u32 s4, s3
	ds_read2_b32 v[1:2], v9 offset1:2
	ds_read2_b32 v[3:4], v9 offset0:4 offset1:6
	ds_read2_b32 v[7:8], v9 offset0:8 offset1:10
	;; [unrolled: 1-line block ×3, first 2 shown]
	s_waitcnt lgkmcnt(3)
	v_max3_f32 v1, v6, v1, v2
	s_waitcnt lgkmcnt(2)
	v_max3_f32 v1, v1, v3, v4
	;; [unrolled: 2-line block ×4, first 2 shown]
	s_cbranch_scc0 .LBB4_6
; %bb.7:
	s_add_i32 s1, s5, 9
	s_and_b32 s0, s0, 7
	s_cmp_eq_u32 s0, 0
	s_cbranch_scc0 .LBB4_9
	s_branch .LBB4_11
.LBB4_8:
	s_mov_b32 s1, 1
	s_and_b32 s0, s0, 7
	s_cmp_eq_u32 s0, 0
	s_cbranch_scc1 .LBB4_11
.LBB4_9:
	s_lshl_b32 s1, s1, 3
	s_add_i32 s1, s1, 0
.LBB4_10:                               ; =>This Inner Loop Header: Depth=1
	v_mov_b32_e32 v1, s1
	s_waitcnt lgkmcnt(0)
	v_max_f32_e32 v2, v6, v6
	s_add_i32 s0, s0, -1
	s_add_i32 s1, s1, 8
	s_cmp_lg_u32 s0, 0
	ds_read_b32 v1, v1
	s_waitcnt lgkmcnt(0)
	v_max_f32_e32 v1, v1, v1
	v_max_f32_e32 v6, v2, v1
	s_cbranch_scc1 .LBB4_10
.LBB4_11:
	s_cmp_lt_i32 s9, 1
	s_cbranch_scc1 .LBB4_16
; %bb.12:
	s_lshl_b32 s0, s2, 7
	s_ashr_i32 s1, s0, 31
	s_lshl_b64 s[0:1], s[0:1], 2
	s_add_u32 s7, s12, s0
	s_addc_u32 s8, s13, s1
	s_cmp_lt_u32 s9, 8
	s_cbranch_scc1 .LBB4_17
; %bb.13:
	v_or_b32_e32 v1, 0x380, v0
	v_mov_b32_e32 v4, 0
	v_mov_b32_e32 v7, 0
	;; [unrolled: 1-line block ×3, first 2 shown]
	s_and_b32 s12, s9, 0x7ffffff8
	s_mov_b32 s13, 0
	s_mov_b32 s14, 0
.LBB4_14:                               ; =>This Inner Loop Header: Depth=1
	v_add_nc_u32_e32 v3, 0xfffffc80, v1
	v_mov_b32_e32 v2, v4
	v_mov_b32_e32 v21, s14
	s_add_i32 s13, s13, 8
	s_add_i32 s14, s14, 64
	v_lshlrev_b64 v[9:10], 2, v[3:4]
	v_add_nc_u32_e32 v3, 0xfffffd00, v1
	v_lshlrev_b64 v[11:12], 2, v[1:2]
	s_cmp_eq_u32 s12, s13
	v_lshlrev_b64 v[13:14], 2, v[3:4]
	v_add_nc_u32_e32 v3, 0xfffffd80, v1
	v_add_co_u32 v9, vcc_lo, s7, v9
	v_add_co_ci_u32_e64 v10, null, s8, v10, vcc_lo
	v_add_co_u32 v13, vcc_lo, s7, v13
	v_lshlrev_b64 v[15:16], 2, v[3:4]
	v_add_nc_u32_e32 v3, 0xfffffe00, v1
	v_add_co_ci_u32_e64 v14, null, s8, v14, vcc_lo
	s_clause 0x1
	global_load_dword v25, v[9:10], off
	global_load_dword v26, v[13:14], off
	v_lshlrev_b64 v[9:10], 2, v[3:4]
	v_add_nc_u32_e32 v3, 0xfffffe80, v1
	v_add_co_u32 v13, vcc_lo, s7, v15
	v_add_co_ci_u32_e64 v14, null, s8, v16, vcc_lo
	v_add_co_u32 v9, vcc_lo, s7, v9
	v_lshlrev_b64 v[15:16], 2, v[3:4]
	v_add_nc_u32_e32 v3, 0xffffff00, v1
	v_add_co_ci_u32_e64 v10, null, s8, v10, vcc_lo
	s_clause 0x1
	global_load_dword v27, v[13:14], off
	global_load_dword v28, v[9:10], off
	v_lshlrev_b64 v[13:14], 2, v[3:4]
	v_add_nc_u32_e32 v3, 0xffffff80, v1
	v_add_co_u32 v9, vcc_lo, s7, v15
	v_add_co_ci_u32_e64 v10, null, s8, v16, vcc_lo
	v_add_co_u32 v13, vcc_lo, s7, v13
	v_lshlrev_b64 v[2:3], 2, v[3:4]
	v_add_co_ci_u32_e64 v14, null, s8, v14, vcc_lo
	s_clause 0x1
	global_load_dword v29, v[9:10], off
	global_load_dword v30, v[13:14], off
	v_add_co_u32 v2, vcc_lo, s7, v2
	v_add_co_ci_u32_e64 v3, null, s8, v3, vcc_lo
	v_add_co_u32 v9, vcc_lo, s7, v11
	v_add_co_ci_u32_e64 v10, null, s8, v12, vcc_lo
	s_clause 0x1
	global_load_dword v2, v[2:3], off
	global_load_dword v3, v[9:10], off
	ds_read2_b64 v[9:12], v21 offset1:1
	ds_read2_b64 v[13:16], v21 offset0:2 offset1:3
	ds_read2_b64 v[17:20], v21 offset0:4 offset1:5
	ds_read2_b64 v[21:24], v21 offset0:6 offset1:7
	v_add_nc_u32_e32 v1, 0x400, v1
	s_waitcnt lgkmcnt(3)
	v_sub_f32_e32 v9, v9, v6
	v_sub_f32_e32 v11, v11, v6
	s_waitcnt lgkmcnt(2)
	v_sub_f32_e32 v13, v13, v6
	v_sub_f32_e32 v15, v15, v6
	s_waitcnt lgkmcnt(1)
	v_sub_f32_e32 v17, v17, v6
	v_mul_f32_e32 v31, 0x3fb8aa3b, v9
	v_mul_f32_e32 v32, 0x3fb8aa3b, v11
	;; [unrolled: 1-line block ×4, first 2 shown]
	v_sub_f32_e32 v19, v19, v6
	v_fma_f32 v39, 0x3fb8aa3b, v9, -v31
	v_rndne_f32_e32 v40, v31
	v_fma_f32 v41, 0x3fb8aa3b, v11, -v32
	v_rndne_f32_e32 v42, v32
	v_fma_f32 v43, 0x3fb8aa3b, v13, -v33
	v_fmac_f32_e32 v39, 0x32a5705f, v9
	v_sub_f32_e32 v31, v31, v40
	v_rndne_f32_e32 v44, v33
	v_fmac_f32_e32 v41, 0x32a5705f, v11
	v_sub_f32_e32 v32, v32, v42
	v_fmac_f32_e32 v43, 0x32a5705f, v13
	v_add_f32_e32 v31, v31, v39
	v_sub_f32_e32 v33, v33, v44
	v_mul_f32_e32 v35, 0x3fb8aa3b, v17
	v_add_f32_e32 v32, v32, v41
	v_fma_f32 v45, 0x3fb8aa3b, v15, -v34
	v_exp_f32_e32 v31, v31
	v_rndne_f32_e32 v46, v34
	v_add_f32_e32 v33, v33, v43
	v_cvt_i32_f32_e32 v40, v40
	v_exp_f32_e32 v32, v32
	s_waitcnt lgkmcnt(0)
	v_sub_f32_e32 v21, v21, v6
	v_mul_f32_e32 v36, 0x3fb8aa3b, v19
	v_fma_f32 v47, 0x3fb8aa3b, v17, -v35
	v_rndne_f32_e32 v48, v35
	v_cvt_i32_f32_e32 v42, v42
	v_fmac_f32_e32 v45, 0x32a5705f, v15
	v_sub_f32_e32 v34, v34, v46
	v_exp_f32_e32 v33, v33
	v_ldexp_f32 v31, v31, v40
	v_cmp_ngt_f32_e64 s5, 0xc2ce8ed0, v9
	v_sub_f32_e32 v23, v23, v6
	v_mul_f32_e32 v37, 0x3fb8aa3b, v21
	v_fma_f32 v49, 0x3fb8aa3b, v19, -v36
	v_rndne_f32_e32 v50, v36
	v_cvt_i32_f32_e32 v44, v44
	v_fmac_f32_e32 v47, 0x32a5705f, v17
	v_sub_f32_e32 v35, v35, v48
	v_add_f32_e32 v34, v34, v45
	v_ldexp_f32 v32, v32, v42
	v_cndmask_b32_e64 v31, 0, v31, s5
	v_cmp_ngt_f32_e64 s5, 0xc2ce8ed0, v11
	v_mul_f32_e32 v38, 0x3fb8aa3b, v23
	v_fma_f32 v51, 0x3fb8aa3b, v21, -v37
	v_rndne_f32_e32 v39, v37
	v_fmac_f32_e32 v49, 0x32a5705f, v19
	v_sub_f32_e32 v36, v36, v50
	v_add_f32_e32 v35, v35, v47
	v_exp_f32_e32 v34, v34
	v_ldexp_f32 v33, v33, v44
	v_cmp_ngt_f32_e32 vcc_lo, 0xc2ce8ed0, v13
	v_cndmask_b32_e64 v32, 0, v32, s5
	v_cmp_nlt_f32_e64 s5, 0x42b17218, v9
	v_fma_f32 v41, 0x3fb8aa3b, v23, -v38
	v_rndne_f32_e32 v43, v38
	v_cvt_i32_f32_e32 v46, v46
	v_fmac_f32_e32 v51, 0x32a5705f, v21
	v_sub_f32_e32 v37, v37, v39
	v_add_f32_e32 v36, v36, v49
	v_exp_f32_e32 v35, v35
	v_cndmask_b32_e64 v9, 0x7f800000, v31, s5
	v_cndmask_b32_e32 v31, 0, v33, vcc_lo
	v_cmp_nlt_f32_e32 vcc_lo, 0x42b17218, v11
	v_cvt_i32_f32_e32 v48, v48
	v_fmac_f32_e32 v41, 0x32a5705f, v23
	v_sub_f32_e32 v38, v38, v43
	v_add_f32_e32 v37, v37, v51
	v_exp_f32_e32 v36, v36
	v_ldexp_f32 v34, v34, v46
	v_cmp_ngt_f32_e64 s0, 0xc2ce8ed0, v15
	v_cndmask_b32_e32 v11, 0x7f800000, v32, vcc_lo
	v_fmac_f32_e32 v8, v9, v10
	v_cmp_nlt_f32_e32 vcc_lo, 0x42b17218, v13
	v_cvt_i32_f32_e32 v50, v50
	v_add_f32_e32 v38, v38, v41
	v_exp_f32_e32 v37, v37
	v_ldexp_f32 v35, v35, v48
	v_cmp_ngt_f32_e64 s1, 0xc2ce8ed0, v17
	v_cndmask_b32_e32 v10, 0x7f800000, v31, vcc_lo
	v_fmac_f32_e32 v8, v11, v12
	v_cmp_nlt_f32_e32 vcc_lo, 0x42b17218, v15
	v_cvt_i32_f32_e32 v39, v39
	v_exp_f32_e32 v38, v38
	v_ldexp_f32 v36, v36, v50
	v_cmp_ngt_f32_e64 s2, 0xc2ce8ed0, v19
	v_fmac_f32_e32 v8, v10, v14
	v_cvt_i32_f32_e32 v43, v43
	v_ldexp_f32 v37, v37, v39
	v_cmp_ngt_f32_e64 s3, 0xc2ce8ed0, v21
	v_cmp_ngt_f32_e64 s4, 0xc2ce8ed0, v23
	v_ldexp_f32 v38, v38, v43
	s_waitcnt vmcnt(7)
	v_fmac_f32_e32 v7, v25, v9
	v_cndmask_b32_e64 v9, 0, v34, s0
	s_waitcnt vmcnt(6)
	v_fmac_f32_e32 v7, v26, v11
	v_cndmask_b32_e64 v11, 0, v35, s1
	v_cndmask_b32_e32 v9, 0x7f800000, v9, vcc_lo
	v_cmp_nlt_f32_e32 vcc_lo, 0x42b17218, v17
	v_fmac_f32_e32 v8, v9, v16
	v_cndmask_b32_e32 v11, 0x7f800000, v11, vcc_lo
	v_cmp_nlt_f32_e32 vcc_lo, 0x42b17218, v19
	s_waitcnt vmcnt(5)
	v_fmac_f32_e32 v7, v27, v10
	v_cndmask_b32_e64 v10, 0, v36, s2
	v_fmac_f32_e32 v8, v11, v18
	s_waitcnt vmcnt(4)
	v_fmac_f32_e32 v7, v28, v9
	v_cndmask_b32_e64 v9, 0, v37, s3
	v_cndmask_b32_e32 v10, 0x7f800000, v10, vcc_lo
	v_cmp_nlt_f32_e32 vcc_lo, 0x42b17218, v21
	v_fmac_f32_e32 v8, v10, v20
	v_cndmask_b32_e32 v9, 0x7f800000, v9, vcc_lo
	v_cmp_nlt_f32_e32 vcc_lo, 0x42b17218, v23
	s_waitcnt vmcnt(3)
	v_fmac_f32_e32 v7, v29, v11
	v_cndmask_b32_e64 v11, 0, v38, s4
	v_fmac_f32_e32 v8, v9, v22
	s_waitcnt vmcnt(2)
	v_fmac_f32_e32 v7, v30, v10
	v_cndmask_b32_e32 v10, 0x7f800000, v11, vcc_lo
	s_waitcnt vmcnt(1)
	v_fmac_f32_e32 v7, v2, v9
	v_fmac_f32_e32 v8, v10, v24
	s_waitcnt vmcnt(0)
	v_fmac_f32_e32 v7, v3, v10
	s_cbranch_scc0 .LBB4_14
; %bb.15:
	s_and_b32 s0, s9, 7
	s_cmp_eq_u32 s0, 0
	s_cbranch_scc0 .LBB4_18
	s_branch .LBB4_20
.LBB4_16:
	v_mov_b32_e32 v0, 0x7fc00000
	s_branch .LBB4_21
.LBB4_17:
	v_mov_b32_e32 v7, 0
	v_mov_b32_e32 v8, 0
	s_mov_b32 s12, 0
	s_and_b32 s0, s9, 7
	s_cmp_eq_u32 s0, 0
	s_cbranch_scc1 .LBB4_20
.LBB4_18:
	v_lshl_or_b32 v0, s12, 7, v0
	v_mov_b32_e32 v1, 0
	s_lshl_b32 s1, s12, 3
	s_add_i32 s1, s1, 0
	s_inst_prefetch 0x1
	.p2align	6
.LBB4_19:                               ; =>This Inner Loop Header: Depth=1
	v_lshlrev_b64 v[2:3], 2, v[0:1]
	v_add_nc_u32_e32 v0, 0x80, v0
	s_add_i32 s0, s0, -1
	v_add_co_u32 v2, vcc_lo, s7, v2
	v_add_co_ci_u32_e64 v3, null, s8, v3, vcc_lo
	global_load_dword v4, v[2:3], off
	v_mov_b32_e32 v2, s1
	s_add_i32 s1, s1, 8
	s_cmp_lg_u32 s0, 0
	ds_read_b64 v[2:3], v2
	s_waitcnt lgkmcnt(0)
	v_sub_f32_e32 v2, v2, v6
	v_mul_f32_e32 v9, 0x3fb8aa3b, v2
	v_cmp_ngt_f32_e32 vcc_lo, 0xc2ce8ed0, v2
	v_fma_f32 v10, 0x3fb8aa3b, v2, -v9
	v_rndne_f32_e32 v11, v9
	v_fmac_f32_e32 v10, 0x32a5705f, v2
	v_sub_f32_e32 v9, v9, v11
	v_add_f32_e32 v9, v9, v10
	v_cvt_i32_f32_e32 v10, v11
	v_exp_f32_e32 v9, v9
	v_ldexp_f32 v9, v9, v10
	v_cndmask_b32_e32 v9, 0, v9, vcc_lo
	v_cmp_nlt_f32_e32 vcc_lo, 0x42b17218, v2
	v_cndmask_b32_e32 v2, 0x7f800000, v9, vcc_lo
	v_fmac_f32_e32 v8, v2, v3
	s_waitcnt vmcnt(0)
	v_fmac_f32_e32 v7, v4, v2
	s_cbranch_scc1 .LBB4_19
.LBB4_20:
	s_inst_prefetch 0x2
	v_div_scale_f32 v0, null, v8, v8, v7
	v_rcp_f32_e32 v1, v0
	v_fma_f32 v2, -v0, v1, 1.0
	v_fmac_f32_e32 v1, v2, v1
	v_div_scale_f32 v2, vcc_lo, v7, v8, v7
	v_mul_f32_e32 v3, v2, v1
	v_fma_f32 v4, -v0, v3, v2
	v_fmac_f32_e32 v3, v4, v1
	v_fma_f32 v0, -v0, v3, v2
	v_div_fmas_f32 v0, v0, v1, v3
	v_div_fixup_f32 v0, v0, v8, v7
.LBB4_21:
	s_lshl_b32 s0, s6, 7
	s_ashr_i32 s1, s0, 31
	s_lshl_b64 s[0:1], s[0:1], 2
	s_add_u32 s0, s10, s0
	s_addc_u32 s1, s11, s1
	global_store_dword v5, v0, s[0:1]
	s_endpgm
	.section	.rodata,"a",@progbits
	.p2align	6, 0x0
	.amdhsa_kernel _ZL26flash_attn_combine_resultsILi128EEvPKfPK15HIP_vector_typeIfLj2EEPfi
		.amdhsa_group_segment_fixed_size 0
		.amdhsa_private_segment_fixed_size 0
		.amdhsa_kernarg_size 288
		.amdhsa_user_sgpr_count 6
		.amdhsa_user_sgpr_private_segment_buffer 1
		.amdhsa_user_sgpr_dispatch_ptr 0
		.amdhsa_user_sgpr_queue_ptr 0
		.amdhsa_user_sgpr_kernarg_segment_ptr 1
		.amdhsa_user_sgpr_dispatch_id 0
		.amdhsa_user_sgpr_flat_scratch_init 0
		.amdhsa_user_sgpr_private_segment_size 0
		.amdhsa_wavefront_size32 1
		.amdhsa_uses_dynamic_stack 0
		.amdhsa_system_sgpr_private_segment_wavefront_offset 0
		.amdhsa_system_sgpr_workgroup_id_x 1
		.amdhsa_system_sgpr_workgroup_id_y 1
		.amdhsa_system_sgpr_workgroup_id_z 1
		.amdhsa_system_sgpr_workgroup_info 0
		.amdhsa_system_vgpr_workitem_id 0
		.amdhsa_next_free_vgpr 52
		.amdhsa_next_free_sgpr 18
		.amdhsa_reserve_vcc 1
		.amdhsa_reserve_flat_scratch 0
		.amdhsa_float_round_mode_32 0
		.amdhsa_float_round_mode_16_64 0
		.amdhsa_float_denorm_mode_32 3
		.amdhsa_float_denorm_mode_16_64 3
		.amdhsa_dx10_clamp 1
		.amdhsa_ieee_mode 1
		.amdhsa_fp16_overflow 0
		.amdhsa_workgroup_processor_mode 1
		.amdhsa_memory_ordered 1
		.amdhsa_forward_progress 1
		.amdhsa_shared_vgpr_count 0
		.amdhsa_exception_fp_ieee_invalid_op 0
		.amdhsa_exception_fp_denorm_src 0
		.amdhsa_exception_fp_ieee_div_zero 0
		.amdhsa_exception_fp_ieee_overflow 0
		.amdhsa_exception_fp_ieee_underflow 0
		.amdhsa_exception_fp_ieee_inexact 0
		.amdhsa_exception_int_div_zero 0
	.end_amdhsa_kernel
	.section	.text._ZL26flash_attn_combine_resultsILi128EEvPKfPK15HIP_vector_typeIfLj2EEPfi,"axG",@progbits,_ZL26flash_attn_combine_resultsILi128EEvPKfPK15HIP_vector_typeIfLj2EEPfi,comdat
.Lfunc_end4:
	.size	_ZL26flash_attn_combine_resultsILi128EEvPKfPK15HIP_vector_typeIfLj2EEPfi, .Lfunc_end4-_ZL26flash_attn_combine_resultsILi128EEvPKfPK15HIP_vector_typeIfLj2EEPfi
                                        ; -- End function
	.set _ZL26flash_attn_combine_resultsILi128EEvPKfPK15HIP_vector_typeIfLj2EEPfi.num_vgpr, 52
	.set _ZL26flash_attn_combine_resultsILi128EEvPKfPK15HIP_vector_typeIfLj2EEPfi.num_agpr, 0
	.set _ZL26flash_attn_combine_resultsILi128EEvPKfPK15HIP_vector_typeIfLj2EEPfi.numbered_sgpr, 18
	.set _ZL26flash_attn_combine_resultsILi128EEvPKfPK15HIP_vector_typeIfLj2EEPfi.num_named_barrier, 0
	.set _ZL26flash_attn_combine_resultsILi128EEvPKfPK15HIP_vector_typeIfLj2EEPfi.private_seg_size, 0
	.set _ZL26flash_attn_combine_resultsILi128EEvPKfPK15HIP_vector_typeIfLj2EEPfi.uses_vcc, 1
	.set _ZL26flash_attn_combine_resultsILi128EEvPKfPK15HIP_vector_typeIfLj2EEPfi.uses_flat_scratch, 0
	.set _ZL26flash_attn_combine_resultsILi128EEvPKfPK15HIP_vector_typeIfLj2EEPfi.has_dyn_sized_stack, 0
	.set _ZL26flash_attn_combine_resultsILi128EEvPKfPK15HIP_vector_typeIfLj2EEPfi.has_recursion, 0
	.set _ZL26flash_attn_combine_resultsILi128EEvPKfPK15HIP_vector_typeIfLj2EEPfi.has_indirect_call, 0
	.section	.AMDGPU.csdata,"",@progbits
; Kernel info:
; codeLenInByte = 2264
; TotalNumSgprs: 20
; NumVgprs: 52
; ScratchSize: 0
; MemoryBound: 0
; FloatMode: 240
; IeeeMode: 1
; LDSByteSize: 0 bytes/workgroup (compile time only)
; SGPRBlocks: 0
; VGPRBlocks: 6
; NumSGPRsForWavesPerEU: 20
; NumVGPRsForWavesPerEU: 52
; Occupancy: 16
; WaveLimiterHint : 0
; COMPUTE_PGM_RSRC2:SCRATCH_EN: 0
; COMPUTE_PGM_RSRC2:USER_SGPR: 6
; COMPUTE_PGM_RSRC2:TRAP_HANDLER: 0
; COMPUTE_PGM_RSRC2:TGID_X_EN: 1
; COMPUTE_PGM_RSRC2:TGID_Y_EN: 1
; COMPUTE_PGM_RSRC2:TGID_Z_EN: 1
; COMPUTE_PGM_RSRC2:TIDIG_COMP_CNT: 0
	.section	.text._ZL15flash_attn_tileILi192ELi128ELi1ELi16ELb0EEvPKcS1_S1_S1_S1_PKiPfP15HIP_vector_typeIfLj2EEffffjfiS5_IjLj3EEiiiiiiiiiiiliiliiiiil,"axG",@progbits,_ZL15flash_attn_tileILi192ELi128ELi1ELi16ELb0EEvPKcS1_S1_S1_S1_PKiPfP15HIP_vector_typeIfLj2EEffffjfiS5_IjLj3EEiiiiiiiiiiiliiliiiiil,comdat
	.globl	_ZL15flash_attn_tileILi192ELi128ELi1ELi16ELb0EEvPKcS1_S1_S1_S1_PKiPfP15HIP_vector_typeIfLj2EEffffjfiS5_IjLj3EEiiiiiiiiiiiliiliiiiil ; -- Begin function _ZL15flash_attn_tileILi192ELi128ELi1ELi16ELb0EEvPKcS1_S1_S1_S1_PKiPfP15HIP_vector_typeIfLj2EEffffjfiS5_IjLj3EEiiiiiiiiiiiliiliiiiil
	.p2align	8
	.type	_ZL15flash_attn_tileILi192ELi128ELi1ELi16ELb0EEvPKcS1_S1_S1_S1_PKiPfP15HIP_vector_typeIfLj2EEffffjfiS5_IjLj3EEiiiiiiiiiiiliiliiiiil,@function
_ZL15flash_attn_tileILi192ELi128ELi1ELi16ELb0EEvPKcS1_S1_S1_S1_PKiPfP15HIP_vector_typeIfLj2EEffffjfiS5_IjLj3EEiiiiiiiiiiiliiliiiiil: ; @_ZL15flash_attn_tileILi192ELi128ELi1ELi16ELb0EEvPKcS1_S1_S1_S1_PKiPfP15HIP_vector_typeIfLj2EEffffjfiS5_IjLj3EEiiiiiiiiiiiliiliiiiil
; %bb.0:
	s_clause 0x1
	s_load_dwordx4 s[0:3], s[4:5], 0x5c
	s_load_dwordx2 s[30:31], s[4:5], 0x80
	s_mov_b32 s28, s7
	s_mov_b64 s[34:35], 0
	s_waitcnt lgkmcnt(0)
	s_ashr_i32 s7, s3, 31
	s_lshr_b32 s7, s7, 28
	s_add_i32 s7, s3, s7
	s_ashr_i32 s7, s7, 4
	v_cvt_f32_u32_e32 v2, s7
	s_sub_i32 s10, 0, s7
	v_rcp_iflag_f32_e32 v2, v2
	v_mul_f32_e32 v2, 0x4f7ffffe, v2
	v_cvt_u32_f32_e32 v2, v2
	v_readfirstlane_b32 s9, v2
	s_mul_i32 s10, s10, s9
	s_mul_hi_u32 s10, s9, s10
	s_add_i32 s9, s9, s10
	s_mul_hi_u32 s9, s8, s9
	s_mul_i32 s10, s9, s7
	s_add_i32 s11, s9, 1
	s_sub_i32 s10, s8, s10
	s_sub_i32 s12, s10, s7
	s_cmp_ge_u32 s10, s7
	s_cselect_b32 s9, s11, s9
	s_cselect_b32 s10, s12, s10
	s_add_i32 s11, s9, 1
	s_cmp_ge_u32 s10, s7
	s_cselect_b32 s29, s11, s9
	s_abs_i32 s7, s31
	s_lshl_b32 s8, s8, 4
	v_cvt_f32_u32_e32 v2, s7
	s_sub_i32 s10, 0, s7
	s_mul_i32 s11, s29, s3
	s_abs_i32 s12, s3
	s_sub_i32 s33, s8, s11
	v_rcp_iflag_f32_e32 v2, v2
	v_mul_f32_e32 v2, 0x4f7ffffe, v2
	v_cvt_u32_f32_e32 v2, v2
	v_readfirstlane_b32 s9, v2
	s_mul_i32 s10, s10, s9
	s_mul_hi_u32 s10, s9, s10
	s_add_i32 s9, s9, s10
	s_mul_hi_u32 s8, s12, s9
	s_xor_b32 s9, s3, s31
	s_mul_i32 s10, s8, s7
	s_ashr_i32 s9, s9, 31
	s_sub_i32 s10, s12, s10
	s_add_i32 s11, s8, 1
	s_sub_i32 s12, s10, s7
	s_cmp_ge_u32 s10, s7
	s_cselect_b32 s8, s11, s8
	s_cselect_b32 s10, s12, s10
	s_add_i32 s11, s8, 1
	s_cmp_ge_u32 s10, s7
	s_cselect_b32 s7, s11, s8
	s_xor_b32 s7, s7, s9
	s_sub_i32 s31, s7, s9
	s_clause 0x1
	s_load_dwordx16 s[8:23], s[4:5], 0x0
	s_load_dwordx2 s[36:37], s[4:5], 0xb8
	s_abs_i32 s7, s31
	v_cvt_f32_u32_e32 v2, s7
	v_rcp_iflag_f32_e32 v2, v2
	v_mul_f32_e32 v2, 0x4f7ffffe, v2
	s_waitcnt lgkmcnt(0)
	s_cmp_eq_u64 s[14:15], 0
	v_cvt_u32_f32_e32 v2, v2
	v_readfirstlane_b32 s38, v2
	s_cbranch_scc1 .LBB5_2
; %bb.1:
	s_abs_i32 s26, s36
	s_abs_i32 s27, s29
	v_cvt_f32_u32_e32 v2, s26
	s_sub_i32 s25, 0, s26
	v_rcp_iflag_f32_e32 v2, v2
	v_mul_f32_e32 v2, 0x4f7ffffe, v2
	v_cvt_u32_f32_e32 v2, v2
	v_readfirstlane_b32 s24, v2
	s_mul_i32 s25, s25, s24
	s_mul_hi_u32 s25, s24, s25
	s_add_i32 s24, s24, s25
	s_mul_hi_u32 s34, s27, s24
	s_load_dwordx2 s[24:25], s[4:5], 0xc8
	s_mul_i32 s34, s34, s26
	s_sub_i32 s27, s27, s34
	s_ashr_i32 s34, s29, 31
	s_sub_i32 s35, s27, s26
	s_cmp_ge_u32 s27, s26
	s_cselect_b32 s27, s35, s27
	s_sub_i32 s35, s27, s26
	s_cmp_ge_u32 s27, s26
	s_cselect_b32 s26, s35, s27
	s_xor_b32 s26, s26, s34
	s_sub_i32 s26, s26, s34
	s_ashr_i32 s27, s26, 31
	s_waitcnt lgkmcnt(0)
	s_mul_hi_u32 s34, s24, s26
	s_mul_i32 s27, s24, s27
	s_mul_i32 s25, s25, s26
	s_add_i32 s27, s34, s27
	s_mul_i32 s24, s24, s26
	s_add_i32 s27, s27, s25
	s_add_u32 s34, s14, s24
	s_addc_u32 s35, s15, s27
.LBB5_2:
	v_lshrrev_b32_e32 v2, 3, v1
	s_load_dwordx4 s[24:27], s[4:5], 0x70
	v_lshlrev_b32_e32 v6, 1, v1
	v_add_nc_u32_e32 v2, s6, v2
	v_and_b32_e32 v9, 14, v6
	v_mul_hi_u32 v3, s0, v2
	v_add_nc_u32_e32 v3, v2, v3
	s_waitcnt lgkmcnt(0)
	s_mul_i32 s0, s29, s26
	s_mov_b32 s14, s25
	v_lshrrev_b32_e32 v3, s1, v3
	s_mul_i32 s1, s33, s25
	s_ashr_i32 s15, s0, 31
	s_add_u32 s0, s8, s0
	s_addc_u32 s8, s9, s15
	v_mul_lo_u32 v3, v3, s2
	s_ashr_i32 s9, s1, 31
	s_add_u32 s26, s0, s1
	s_addc_u32 s8, s8, s9
	s_ashr_i32 s15, s25, 31
	s_ashr_i32 s25, s24, 31
	s_lshr_b64 s[0:1], s[24:25], 2
	v_sub_nc_u32_e32 v5, v2, v3
	s_lshr_b32 s9, s25, 2
	v_mad_u64_u32 v[3:4], null, s0, v5, 0
	s_lshr_b64 s[0:1], s[14:15], 2
	v_mad_u64_u32 v[7:8], null, s0, v9, 0
	v_mad_u64_u32 v[10:11], null, s9, v5, v[4:5]
	s_lshr_b32 s9, s15, 2
	v_mov_b32_e32 v4, v10
	v_mad_u64_u32 v[10:11], null, s9, v9, v[8:9]
	v_lshlrev_b32_e32 v11, 4, v0
	v_lshlrev_b64 v[3:4], 2, v[3:4]
	v_mov_b32_e32 v8, v10
	v_add_co_u32 v10, vcc_lo, s26, v3
	v_add_co_ci_u32_e64 v12, null, s8, v4, vcc_lo
	v_lshlrev_b64 v[3:4], 2, v[7:8]
	v_add_co_u32 v10, vcc_lo, v10, v11
	v_add_co_ci_u32_e64 v11, null, 0, v12, vcc_lo
	s_load_dword s8, s[4:5], 0x40
	v_add_co_u32 v3, vcc_lo, v10, v3
	v_add_co_ci_u32_e64 v4, null, v11, v4, vcc_lo
	v_cmp_gt_u32_e32 vcc_lo, 16, v0
	global_load_dwordx4 v[12:15], v[3:4], off
	s_waitcnt vmcnt(0) lgkmcnt(0)
	v_fma_mixlo_f16 v7, s8, v13, 0
	v_fma_mixlo_f16 v8, s8, v12, 0
	;; [unrolled: 1-line block ×4, first 2 shown]
	v_lshlrev_b32_e32 v14, 16, v7
	v_and_b32_e32 v8, 0xffff, v8
	v_lshlrev_b32_e32 v7, 3, v0
	v_lshlrev_b32_e32 v13, 16, v13
	v_and_b32_e32 v12, 0xffff, v12
	v_or_b32_e32 v14, v14, v8
	v_mul_u32_u24_e32 v8, 0x300, v1
	v_mad_u32_u24 v15, 0x300, v1, v7
	v_or3_b32 v13, v13, v12, 0
	v_or3_b32 v12, 0, 0, v14
	ds_write_b64 v15, v[12:13]
	s_and_saveexec_b32 s9, vcc_lo
	s_cbranch_execz .LBB5_4
; %bb.3:
	global_load_dwordx4 v[12:15], v[3:4], off offset:512
	s_waitcnt vmcnt(0)
	v_fma_mixlo_f16 v3, s8, v13, 0
	v_fma_mixlo_f16 v4, s8, v12, 0
	;; [unrolled: 1-line block ×4, first 2 shown]
	v_lshlrev_b32_e32 v3, 16, v3
	v_and_b32_e32 v4, 0xffff, v4
	v_and_b32_e32 v12, 0xffff, v12
	v_lshlrev_b32_e32 v13, 16, v13
	v_or_b32_e32 v3, v3, v4
	v_or3_b32 v4, v13, v12, 0
	v_add_nc_u32_e32 v12, v7, v8
	v_or3_b32 v3, 0, 0, v3
	ds_write_b64 v12, v[3:4] offset:256
.LBB5_4:
	s_or_b32 exec_lo, exec_lo, s9
	v_or_b32_e32 v12, 1, v6
	v_and_b32_e32 v13, 15, v12
	v_mad_u64_u32 v[3:4], null, s0, v13, 0
	v_mad_u64_u32 v[13:14], null, s1, v13, v[4:5]
	v_mov_b32_e32 v4, v13
	v_lshlrev_b64 v[3:4], 2, v[3:4]
	v_add_co_u32 v3, s0, v10, v3
	v_add_co_ci_u32_e64 v4, null, v11, v4, s0
	global_load_dwordx4 v[13:16], v[3:4], off
	s_waitcnt vmcnt(0)
	v_fma_mixlo_f16 v10, s8, v14, 0
	v_fma_mixlo_f16 v11, s8, v13, 0
	;; [unrolled: 1-line block ×4, first 2 shown]
	v_mad_u32_u24 v15, 0x180, v12, v7
	v_lshlrev_b32_e32 v10, 16, v10
	v_and_b32_e32 v11, 0xffff, v11
	v_and_b32_e32 v13, 0xffff, v13
	v_lshlrev_b32_e32 v14, 16, v14
	v_or_b32_e32 v10, v10, v11
	v_or3_b32 v11, v14, v13, 0
	v_or3_b32 v10, 0, 0, v10
	ds_write_b64 v15, v[10:11]
	s_and_saveexec_b32 s0, vcc_lo
	s_cbranch_execz .LBB5_6
; %bb.5:
	global_load_dwordx4 v[13:16], v[3:4], off offset:512
	v_mul_u32_u24_e32 v12, 0x180, v12
	s_waitcnt vmcnt(0)
	v_fma_mixlo_f16 v3, s8, v14, 0
	v_fma_mixlo_f16 v4, s8, v13, 0
	v_fma_mixlo_f16 v10, s8, v15, 0
	v_fma_mixlo_f16 v11, s8, v16, 0
	v_lshlrev_b32_e32 v3, 16, v3
	v_and_b32_e32 v4, 0xffff, v4
	v_and_b32_e32 v10, 0xffff, v10
	v_lshlrev_b32_e32 v11, 16, v11
	v_or_b32_e32 v3, v3, v4
	v_or3_b32 v4, v11, v10, 0
	v_add_nc_u32_e32 v10, v7, v12
	v_or3_b32 v3, 0, 0, v3
	ds_write_b64 v10, v[3:4] offset:256
.LBB5_6:
	s_or_b32 exec_lo, exec_lo, s0
	s_cmp_eq_u64 s[18:19], 0
	s_waitcnt lgkmcnt(0)
	s_barrier
	buffer_gl0_inv
	s_cbranch_scc1 .LBB5_8
; %bb.7:
	s_load_dword s0, s[4:5], 0xd0
	s_mov_b32 s1, 0
	s_waitcnt lgkmcnt(0)
	s_mul_i32 s0, s0, s29
	s_add_i32 s0, s0, s6
	s_lshl_b64 s[0:1], s[0:1], 2
	s_add_u32 s0, s18, s0
	s_addc_u32 s1, s19, s1
	s_load_dword s30, s[0:1], 0x0
.LBB5_8:
	v_mbcnt_lo_u32_b32 v10, -1, 0
	s_lshl_b32 s14, s28, 5
	s_waitcnt lgkmcnt(0)
	s_cmp_lt_i32 s14, s30
	s_cbranch_scc1 .LBB5_11
; %bb.9:
	v_mbcnt_lo_u32_b32 v3, -1, 0
	v_mov_b32_e32 v12, 32
	v_xor_b32_e32 v17, 16, v3
	v_xor_b32_e32 v16, 8, v3
	;; [unrolled: 1-line block ×5, first 2 shown]
	v_lshlrev_b32_e32 v11, 2, v0
	s_cbranch_execz .LBB5_12
; %bb.10:
	v_mov_b32_e32 v32, 0
	v_mov_b32_e32 v1, 0
	;; [unrolled: 1-line block ×8, first 2 shown]
	s_branch .LBB5_15
.LBB5_11:
                                        ; implicit-def: $vgpr3
                                        ; implicit-def: $vgpr12
                                        ; implicit-def: $vgpr17
                                        ; implicit-def: $vgpr16
                                        ; implicit-def: $vgpr15
                                        ; implicit-def: $vgpr14
                                        ; implicit-def: $vgpr13
	v_lshlrev_b32_e32 v11, 2, v0
.LBB5_12:
	s_clause 0x1
	s_load_dwordx4 s[24:27], s[4:5], 0x98
	s_load_dwordx2 s[0:1], s[4:5], 0x8c
	s_sub_i32 s6, 0, s7
	s_abs_i32 s19, s33
	s_mul_i32 s6, s6, s38
	v_lshrrev_b32_e32 v3, 3, v0
	s_mul_hi_u32 s6, s38, s6
	s_ashr_i32 s36, s33, 31
	s_add_i32 s38, s38, s6
	s_ashr_i32 s6, s37, 1
	s_mul_hi_u32 s37, s19, s38
	s_ashr_i32 s38, s29, 31
	v_lshl_add_u32 v12, v1, 2, v3
	s_ashr_i32 s31, s31, 31
	s_mul_i32 s39, s37, s7
	s_load_dwordx2 s[8:9], s[4:5], 0xa8
	v_lshrrev_b32_e32 v13, 4, v0
	v_mul_u32_u24_e32 v15, 0x90, v12
	v_and_b32_e32 v14, 28, v11
	v_lshl_add_u32 v22, v1, 7, 0x2a00
	s_waitcnt lgkmcnt(0)
	s_ashr_i32 s15, s26, 2
	s_ashr_i32 s18, s0, 2
	s_mul_hi_u32 s0, s24, s29
	s_mul_i32 s26, s24, s38
	s_mul_i32 s25, s25, s29
	s_add_i32 s0, s0, s26
	s_mul_i32 s24, s24, s29
	s_add_i32 s0, s0, s25
	s_add_u32 s10, s10, s24
	s_addc_u32 s0, s11, s0
	s_sub_i32 s19, s19, s39
	s_xor_b32 s11, s36, s31
	s_add_i32 s24, s37, 1
	s_sub_i32 s25, s19, s7
	v_mul_lo_u32 v3, s18, v12
	s_cmp_ge_u32 s19, s7
	v_add_nc_u32_e32 v16, v13, v6
	s_cselect_b32 s24, s24, s37
	s_cselect_b32 s19, s25, s19
	s_add_i32 s25, s24, 1
	s_cmp_ge_u32 s19, s7
	v_mul_lo_u32 v12, s15, v16
	s_cselect_b32 s7, s25, s24
	v_ashrrev_i32_e32 v4, 31, v3
	s_xor_b32 s7, s7, s11
	v_lshlrev_b32_e32 v14, 2, v14
	s_sub_i32 s7, s7, s11
	s_mul_hi_u32 s19, s8, s29
	v_lshlrev_b64 v[3:4], 2, v[3:4]
	s_mul_i32 s1, s7, s1
	v_ashrrev_i32_e32 v13, 31, v12
	s_ashr_i32 s11, s1, 31
	s_add_u32 s1, s10, s1
	s_mul_i32 s24, s8, s38
	s_addc_u32 s0, s0, s11
	v_add3_u32 v18, v15, v14, 0x1800
	v_add_co_u32 v3, vcc_lo, s1, v3
	v_and_b32_e32 v15, 60, v11
	s_mul_i32 s9, s9, s29
	s_add_i32 s10, s19, s24
	s_mul_i32 s8, s8, s29
	v_add_co_ci_u32_e64 v4, null, s0, v4, vcc_lo
	v_lshlrev_b64 v[12:13], 2, v[12:13]
	s_add_i32 s10, s10, s9
	s_mul_i32 s7, s7, s27
	s_add_u32 s8, s12, s8
	s_addc_u32 s9, s13, s10
	s_ashr_i32 s10, s7, 31
	v_add_co_u32 v19, vcc_lo, v3, v14
	v_lshlrev_b32_e32 v14, 2, v15
	s_add_u32 s7, s8, s7
	v_add_co_ci_u32_e64 v20, null, 0, v4, vcc_lo
	v_mad_u64_u32 v[3:4], null, v5, s6, v[0:1]
	s_addc_u32 s8, s9, s10
	v_add_co_u32 v4, vcc_lo, s7, v12
	v_lshl_or_b32 v1, v16, 8, v14
	v_add_co_ci_u32_e64 v5, null, s8, v13, vcc_lo
	s_movk_i32 s9, 0x1800
	v_add_co_u32 v24, vcc_lo, v4, v14
	v_mov_b32_e32 v6, 0
	v_mad_u32_u24 v21, 0x90, v0, s9
	v_add_nc_u32_e32 v23, 0x1800, v1
	v_add_co_ci_u32_e64 v25, null, 0, v5, vcc_lo
	v_mov_b32_e32 v4, 0xfeffffff
	v_mov_b32_e32 v26, 0
	v_mov_b32_e32 v12, 32
	v_xor_b32_e32 v17, 16, v10
	v_xor_b32_e32 v16, 8, v10
	v_xor_b32_e32 v15, 4, v10
	v_xor_b32_e32 v14, 2, v10
	v_xor_b32_e32 v13, 1, v10
	v_add_nc_u32_e32 v27, v22, v11
	v_mov_b32_e32 v28, 0x10001
	v_add_nc_u32_e32 v29, 0x1800, v7
	v_add_nc_u32_e32 v30, 0x2000, v7
	v_mov_b32_e32 v31, 0
	v_mov_b32_e32 v33, 0
	v_mov_b32_e32 v32, 0
	v_mov_b32_e32 v5, 0xfeffffff
	v_mov_b32_e32 v1, 0
	s_add_u32 s6, s4, 0xd0
	s_addc_u32 s7, s5, 0
.LBB5_13:                               ; =>This Inner Loop Header: Depth=1
	v_cmp_gt_i32_e32 vcc_lo, 32, v17
	s_mul_hi_i32 s1, s14, s18
	s_mul_i32 s0, s14, s18
	v_mov_b32_e32 v37, 0
	s_lshl_b64 s[0:1], s[0:1], 2
	v_cndmask_b32_e32 v39, v10, v17, vcc_lo
	v_cmp_gt_i32_e32 vcc_lo, 32, v16
	v_mov_b32_e32 v38, 0
	v_mov_b32_e32 v35, v4
	v_add_nc_u32_e32 v4, s14, v3
	v_lshlrev_b32_e32 v55, 2, v39
	v_cndmask_b32_e32 v40, v10, v16, vcc_lo
	v_cmp_gt_i32_e32 vcc_lo, 32, v15
	v_mov_b32_e32 v36, v5
	v_ashrrev_i32_e32 v5, 31, v4
	s_mul_hi_i32 s9, s14, s15
	v_lshlrev_b32_e32 v56, 2, v40
	v_cndmask_b32_e32 v41, v10, v15, vcc_lo
	v_cmp_gt_i32_e32 vcc_lo, 32, v14
	s_mul_i32 s8, s14, s15
	v_lshlrev_b64 v[4:5], 1, v[4:5]
	s_lshl_b64 s[8:9], s[8:9], 2
	v_lshlrev_b32_e32 v57, 2, v41
	v_cndmask_b32_e32 v42, v10, v14, vcc_lo
	v_cmp_gt_i32_e32 vcc_lo, 32, v13
	v_mov_b32_e32 v34, v6
	v_max_f32_e32 v53, v35, v35
	v_max_f32_e32 v54, v36, v36
	v_lshlrev_b32_e32 v58, 2, v42
	v_cndmask_b32_e32 v43, v10, v13, vcc_lo
	v_add_co_u32 v51, vcc_lo, v19, s0
	v_add_co_ci_u32_e64 v52, null, s1, v20, vcc_lo
	v_lshlrev_b32_e32 v59, 2, v43
	v_add_co_u32 v6, vcc_lo, v24, s8
	global_load_dwordx4 v[39:42], v[51:52], off
	v_add_co_ci_u32_e64 v7, null, s9, v25, vcc_lo
	v_add_co_u32 v4, vcc_lo, s34, v4
	v_add_co_ci_u32_e64 v5, null, s35, v5, vcc_lo
	s_waitcnt vmcnt(0)
	ds_write_b128 v18, v[39:42]
	s_waitcnt lgkmcnt(0)
	s_barrier
	buffer_gl0_inv
	ds_read_b128 v[39:42], v21
	ds_read_b128 v[43:46], v8
	ds_read_b128 v[47:50], v8 offset:384
	s_waitcnt lgkmcnt(1)
	;;#ASMSTART
	v_dot2_f32_f16 v37, v39, v43, v37
	;;#ASMEND
	;;#ASMSTART
	v_dot2_f32_f16 v37, v40, v44, v37
	;;#ASMEND
	;;#ASMSTART
	v_dot2_f32_f16 v37, v41, v45, v37
	;;#ASMEND
	;;#ASMSTART
	v_dot2_f32_f16 v37, v42, v46, v37
	;;#ASMEND
	s_waitcnt lgkmcnt(0)
	;;#ASMSTART
	v_dot2_f32_f16 v38, v39, v47, v38
	;;#ASMEND
	;;#ASMSTART
	v_dot2_f32_f16 v38, v40, v48, v38
	;;#ASMEND
	;;#ASMSTART
	v_dot2_f32_f16 v38, v41, v49, v38
	;;#ASMEND
	;;#ASMSTART
	v_dot2_f32_f16 v38, v42, v50, v38
	;;#ASMEND
	ds_read_b128 v[39:42], v21 offset:16
	ds_read_b128 v[43:46], v8 offset:16
	ds_read_b128 v[47:50], v8 offset:400
	s_waitcnt lgkmcnt(1)
	;;#ASMSTART
	v_dot2_f32_f16 v37, v39, v43, v37
	;;#ASMEND
	;;#ASMSTART
	v_dot2_f32_f16 v37, v40, v44, v37
	;;#ASMEND
	;;#ASMSTART
	v_dot2_f32_f16 v37, v41, v45, v37
	;;#ASMEND
	;;#ASMSTART
	v_dot2_f32_f16 v37, v42, v46, v37
	;;#ASMEND
	s_waitcnt lgkmcnt(0)
	;;#ASMSTART
	v_dot2_f32_f16 v38, v39, v47, v38
	;;#ASMEND
	;;#ASMSTART
	v_dot2_f32_f16 v38, v40, v48, v38
	;;#ASMEND
	;;#ASMSTART
	v_dot2_f32_f16 v38, v41, v49, v38
	;;#ASMEND
	;;#ASMSTART
	v_dot2_f32_f16 v38, v42, v50, v38
	;;#ASMEND
	ds_read_b128 v[39:42], v21 offset:32
	ds_read_b128 v[43:46], v8 offset:32
	;; [unrolled: 29-line block ×7, first 2 shown]
	ds_read_b128 v[47:50], v8 offset:496
	s_waitcnt lgkmcnt(1)
	;;#ASMSTART
	v_dot2_f32_f16 v37, v39, v43, v37
	;;#ASMEND
	;;#ASMSTART
	v_dot2_f32_f16 v37, v40, v44, v37
	;;#ASMEND
	;; [unrolled: 3-line block ×4, first 2 shown]
	s_waitcnt lgkmcnt(0)
	;;#ASMSTART
	v_dot2_f32_f16 v38, v39, v47, v38
	;;#ASMEND
	;;#ASMSTART
	v_dot2_f32_f16 v38, v40, v48, v38
	;;#ASMEND
	;; [unrolled: 3-line block ×4, first 2 shown]
	s_barrier
	buffer_gl0_inv
	global_load_dwordx4 v[39:42], v[51:52], off offset:128
	s_waitcnt vmcnt(0)
	ds_write_b128 v18, v[39:42]
	s_waitcnt lgkmcnt(0)
	s_barrier
	buffer_gl0_inv
	ds_read_b128 v[39:42], v21
	ds_read_b128 v[43:46], v8 offset:128
	ds_read_b128 v[47:50], v8 offset:512
	s_waitcnt lgkmcnt(1)
	;;#ASMSTART
	v_dot2_f32_f16 v37, v39, v43, v37
	;;#ASMEND
	;;#ASMSTART
	v_dot2_f32_f16 v37, v40, v44, v37
	;;#ASMEND
	;;#ASMSTART
	v_dot2_f32_f16 v37, v41, v45, v37
	;;#ASMEND
	;;#ASMSTART
	v_dot2_f32_f16 v37, v42, v46, v37
	;;#ASMEND
	s_waitcnt lgkmcnt(0)
	;;#ASMSTART
	v_dot2_f32_f16 v38, v39, v47, v38
	;;#ASMEND
	;;#ASMSTART
	v_dot2_f32_f16 v38, v40, v48, v38
	;;#ASMEND
	;;#ASMSTART
	v_dot2_f32_f16 v38, v41, v49, v38
	;;#ASMEND
	;;#ASMSTART
	v_dot2_f32_f16 v38, v42, v50, v38
	;;#ASMEND
	ds_read_b128 v[39:42], v21 offset:16
	ds_read_b128 v[43:46], v8 offset:144
	ds_read_b128 v[47:50], v8 offset:528
	s_waitcnt lgkmcnt(1)
	;;#ASMSTART
	v_dot2_f32_f16 v37, v39, v43, v37
	;;#ASMEND
	;;#ASMSTART
	v_dot2_f32_f16 v37, v40, v44, v37
	;;#ASMEND
	;;#ASMSTART
	v_dot2_f32_f16 v37, v41, v45, v37
	;;#ASMEND
	;;#ASMSTART
	v_dot2_f32_f16 v37, v42, v46, v37
	;;#ASMEND
	s_waitcnt lgkmcnt(0)
	;;#ASMSTART
	v_dot2_f32_f16 v38, v39, v47, v38
	;;#ASMEND
	;;#ASMSTART
	v_dot2_f32_f16 v38, v40, v48, v38
	;;#ASMEND
	;;#ASMSTART
	v_dot2_f32_f16 v38, v41, v49, v38
	;;#ASMEND
	;;#ASMSTART
	v_dot2_f32_f16 v38, v42, v50, v38
	;;#ASMEND
	ds_read_b128 v[39:42], v21 offset:32
	;; [unrolled: 29-line block ×7, first 2 shown]
	ds_read_b128 v[43:46], v8 offset:240
	ds_read_b128 v[47:50], v8 offset:624
	s_waitcnt lgkmcnt(1)
	;;#ASMSTART
	v_dot2_f32_f16 v37, v39, v43, v37
	;;#ASMEND
	;;#ASMSTART
	v_dot2_f32_f16 v37, v40, v44, v37
	;;#ASMEND
	;; [unrolled: 3-line block ×4, first 2 shown]
	s_waitcnt lgkmcnt(0)
	;;#ASMSTART
	v_dot2_f32_f16 v38, v39, v47, v38
	;;#ASMEND
	;;#ASMSTART
	v_dot2_f32_f16 v38, v40, v48, v38
	;;#ASMEND
	;; [unrolled: 3-line block ×4, first 2 shown]
	s_barrier
	buffer_gl0_inv
	global_load_dwordx4 v[39:42], v[51:52], off offset:256
	s_waitcnt vmcnt(0)
	ds_write_b128 v18, v[39:42]
	s_waitcnt lgkmcnt(0)
	s_barrier
	buffer_gl0_inv
	ds_read_b128 v[39:42], v21
	ds_read_b128 v[43:46], v8 offset:256
	ds_read_b128 v[47:50], v8 offset:640
	s_waitcnt lgkmcnt(1)
	;;#ASMSTART
	v_dot2_f32_f16 v37, v39, v43, v37
	;;#ASMEND
	;;#ASMSTART
	v_dot2_f32_f16 v37, v40, v44, v37
	;;#ASMEND
	;;#ASMSTART
	v_dot2_f32_f16 v37, v41, v45, v37
	;;#ASMEND
	;;#ASMSTART
	v_dot2_f32_f16 v37, v42, v46, v37
	;;#ASMEND
	s_waitcnt lgkmcnt(0)
	;;#ASMSTART
	v_dot2_f32_f16 v38, v39, v47, v38
	;;#ASMEND
	;;#ASMSTART
	v_dot2_f32_f16 v38, v40, v48, v38
	;;#ASMEND
	;;#ASMSTART
	v_dot2_f32_f16 v38, v41, v49, v38
	;;#ASMEND
	;;#ASMSTART
	v_dot2_f32_f16 v38, v42, v50, v38
	;;#ASMEND
	ds_read_b128 v[39:42], v21 offset:16
	ds_read_b128 v[43:46], v8 offset:272
	ds_read_b128 v[47:50], v8 offset:656
	s_waitcnt lgkmcnt(1)
	;;#ASMSTART
	v_dot2_f32_f16 v37, v39, v43, v37
	;;#ASMEND
	;;#ASMSTART
	v_dot2_f32_f16 v37, v40, v44, v37
	;;#ASMEND
	;;#ASMSTART
	v_dot2_f32_f16 v37, v41, v45, v37
	;;#ASMEND
	;;#ASMSTART
	v_dot2_f32_f16 v37, v42, v46, v37
	;;#ASMEND
	s_waitcnt lgkmcnt(0)
	;;#ASMSTART
	v_dot2_f32_f16 v38, v39, v47, v38
	;;#ASMEND
	;;#ASMSTART
	v_dot2_f32_f16 v38, v40, v48, v38
	;;#ASMEND
	;;#ASMSTART
	v_dot2_f32_f16 v38, v41, v49, v38
	;;#ASMEND
	;;#ASMSTART
	v_dot2_f32_f16 v38, v42, v50, v38
	;;#ASMEND
	ds_read_b128 v[39:42], v21 offset:32
	;; [unrolled: 29-line block ×7, first 2 shown]
	ds_read_b128 v[43:46], v8 offset:368
	ds_read_b128 v[47:50], v8 offset:752
	s_waitcnt lgkmcnt(1)
	;;#ASMSTART
	v_dot2_f32_f16 v37, v39, v43, v37
	;;#ASMEND
	;;#ASMSTART
	v_dot2_f32_f16 v37, v40, v44, v37
	;;#ASMEND
	;; [unrolled: 3-line block ×4, first 2 shown]
	s_waitcnt lgkmcnt(0)
	;;#ASMSTART
	v_dot2_f32_f16 v38, v39, v47, v38
	;;#ASMEND
	;;#ASMSTART
	v_dot2_f32_f16 v38, v40, v48, v38
	;;#ASMEND
	;; [unrolled: 3-line block ×4, first 2 shown]
	global_load_ushort v4, v[4:5], off
	s_waitcnt vmcnt(0)
	s_barrier
	buffer_gl0_inv
	global_load_dwordx4 v[39:42], v[6:7], off
	v_cvt_f32_f16_e32 v4, v4
	v_add_f32_e32 v6, v37, v4
	v_add_f32_e32 v7, v38, v4
	;; [unrolled: 1-line block ×4, first 2 shown]
	v_max_f32_e32 v4, v53, v4
	v_max_f32_e32 v5, v54, v5
	ds_bpermute_b32 v37, v55, v4
	ds_bpermute_b32 v38, v55, v5
	s_waitcnt lgkmcnt(1)
	v_max_f32_e32 v37, v37, v37
	s_waitcnt lgkmcnt(0)
	v_max_f32_e32 v38, v38, v38
	v_max_f32_e32 v4, v4, v37
	v_max_f32_e32 v5, v5, v38
	ds_bpermute_b32 v37, v56, v4
	ds_bpermute_b32 v38, v56, v5
	s_waitcnt lgkmcnt(1)
	v_max_f32_e32 v37, v37, v37
	s_waitcnt lgkmcnt(0)
	v_max_f32_e32 v38, v38, v38
	v_max_f32_e32 v4, v4, v37
	v_max_f32_e32 v5, v5, v38
	ds_bpermute_b32 v37, v57, v4
	ds_bpermute_b32 v38, v57, v5
	s_waitcnt lgkmcnt(1)
	v_max_f32_e32 v37, v37, v37
	s_waitcnt lgkmcnt(0)
	v_max_f32_e32 v38, v38, v38
	v_max_f32_e32 v4, v4, v37
	v_max_f32_e32 v5, v5, v38
	ds_bpermute_b32 v37, v58, v4
	ds_bpermute_b32 v38, v58, v5
	s_waitcnt lgkmcnt(1)
	v_max_f32_e32 v37, v37, v37
	s_waitcnt lgkmcnt(0)
	v_max_f32_e32 v38, v38, v38
	v_max_f32_e32 v4, v4, v37
	v_max_f32_e32 v5, v5, v38
	ds_bpermute_b32 v37, v59, v4
	ds_bpermute_b32 v38, v59, v5
	s_waitcnt lgkmcnt(1)
	v_max_f32_e32 v37, v37, v37
	s_waitcnt lgkmcnt(0)
	v_max_f32_e32 v38, v38, v38
	v_max_f32_e32 v4, v4, v37
	v_max_f32_e32 v5, v5, v38
	v_sub_f32_e32 v6, v6, v4
	v_sub_f32_e32 v7, v7, v5
	;; [unrolled: 1-line block ×4, first 2 shown]
	v_mul_f32_e32 v37, 0x3fb8aa3b, v6
	v_mul_f32_e32 v38, 0x3fb8aa3b, v7
	v_cmp_ngt_f32_e32 vcc_lo, 0xc2ce8ed0, v7
	v_cmp_ngt_f32_e64 s0, 0xc2ce8ed0, v6
	v_fma_f32 v43, 0x3fb8aa3b, v6, -v37
	v_rndne_f32_e32 v44, v37
	v_fma_f32 v45, 0x3fb8aa3b, v7, -v38
	v_rndne_f32_e32 v46, v38
	v_fmac_f32_e32 v43, 0x32a5705f, v6
	v_sub_f32_e32 v37, v37, v44
	v_fmac_f32_e32 v45, 0x32a5705f, v7
	v_sub_f32_e32 v38, v38, v46
	v_cvt_i32_f32_e32 v44, v44
	v_cvt_i32_f32_e32 v46, v46
	v_add_f32_e32 v37, v37, v43
	v_add_f32_e32 v38, v38, v45
	v_exp_f32_e32 v37, v37
	v_exp_f32_e32 v38, v38
	v_ldexp_f32 v37, v37, v44
	v_ldexp_f32 v38, v38, v46
	v_cndmask_b32_e64 v37, 0, v37, s0
	v_cmp_nlt_f32_e64 s0, 0x42b17218, v6
	v_cndmask_b32_e32 v38, 0, v38, vcc_lo
	v_cmp_nlt_f32_e32 vcc_lo, 0x42b17218, v7
	v_cndmask_b32_e64 v6, 0x7f800000, v37, s0
	v_cmp_ngt_f32_e64 s0, 0xc2ce8ed0, v35
	v_cndmask_b32_e32 v7, 0x7f800000, v38, vcc_lo
	v_cmp_ngt_f32_e32 vcc_lo, 0xc2ce8ed0, v36
	v_cvt_f16_f32_e32 v37, v6
	v_cvt_f16_f32_e32 v38, v7
	v_pack_b32_f16 v37, v37, v38
	ds_write_b32 v27, v37
	s_waitcnt vmcnt(0)
	ds_write_b128 v23, v[39:42]
	s_waitcnt lgkmcnt(0)
	s_barrier
	buffer_gl0_inv
	ds_read_b128 v[37:40], v22
	ds_read_b128 v[41:44], v22 offset:16
	ds_read_b128 v[45:48], v22 offset:32
	;; [unrolled: 1-line block ×3, first 2 shown]
	s_waitcnt lgkmcnt(3)
	v_mul_u32_u24_sdwa v53, v37, v28 dst_sel:DWORD dst_unused:UNUSED_PAD src0_sel:WORD_0 src1_sel:DWORD
	v_mul_u32_u24_sdwa v54, v37, v28 dst_sel:DWORD dst_unused:UNUSED_PAD src0_sel:WORD_1 src1_sel:DWORD
	v_mul_f32_e32 v37, 0x3fb8aa3b, v36
	s_waitcnt lgkmcnt(2)
	v_mul_u32_u24_sdwa v59, v42, v28 dst_sel:DWORD dst_unused:UNUSED_PAD src0_sel:WORD_0 src1_sel:DWORD
	v_mul_u32_u24_sdwa v60, v42, v28 dst_sel:DWORD dst_unused:UNUSED_PAD src0_sel:WORD_1 src1_sel:DWORD
	v_mul_u32_u24_sdwa v62, v44, v28 dst_sel:DWORD dst_unused:UNUSED_PAD src0_sel:WORD_0 src1_sel:DWORD
	v_mul_u32_u24_sdwa v63, v44, v28 dst_sel:DWORD dst_unused:UNUSED_PAD src0_sel:WORD_1 src1_sel:DWORD
	v_fma_f32 v42, 0x3fb8aa3b, v36, -v37
	v_rndne_f32_e32 v44, v37
	s_waitcnt lgkmcnt(1)
	v_mul_u32_u24_sdwa v64, v45, v28 dst_sel:DWORD dst_unused:UNUSED_PAD src0_sel:WORD_0 src1_sel:DWORD
	v_mul_u32_u24_sdwa v65, v45, v28 dst_sel:DWORD dst_unused:UNUSED_PAD src0_sel:WORD_1 src1_sel:DWORD
	v_mul_u32_u24_sdwa v66, v46, v28 dst_sel:DWORD dst_unused:UNUSED_PAD src0_sel:WORD_0 src1_sel:DWORD
	v_fmac_f32_e32 v42, 0x32a5705f, v36
	v_sub_f32_e32 v37, v37, v44
	v_mul_u32_u24_sdwa v67, v46, v28 dst_sel:DWORD dst_unused:UNUSED_PAD src0_sel:WORD_1 src1_sel:DWORD
	v_cvt_i32_f32_e32 v44, v44
	v_mul_u32_u24_sdwa v55, v38, v28 dst_sel:DWORD dst_unused:UNUSED_PAD src0_sel:WORD_0 src1_sel:DWORD
	v_mul_u32_u24_sdwa v38, v38, v28 dst_sel:DWORD dst_unused:UNUSED_PAD src0_sel:WORD_1 src1_sel:DWORD
	v_add_f32_e32 v37, v37, v42
	v_mul_f32_e32 v42, 0x3fb8aa3b, v35
	v_mul_u32_u24_sdwa v56, v39, v28 dst_sel:DWORD dst_unused:UNUSED_PAD src0_sel:WORD_0 src1_sel:DWORD
	v_mul_u32_u24_sdwa v39, v39, v28 dst_sel:DWORD dst_unused:UNUSED_PAD src0_sel:WORD_1 src1_sel:DWORD
	v_mul_u32_u24_sdwa v57, v40, v28 dst_sel:DWORD dst_unused:UNUSED_PAD src0_sel:WORD_0 src1_sel:DWORD
	v_exp_f32_e32 v37, v37
	v_fma_f32 v45, 0x3fb8aa3b, v35, -v42
	v_rndne_f32_e32 v46, v42
	v_mul_u32_u24_sdwa v40, v40, v28 dst_sel:DWORD dst_unused:UNUSED_PAD src0_sel:WORD_1 src1_sel:DWORD
	v_mul_u32_u24_sdwa v58, v41, v28 dst_sel:DWORD dst_unused:UNUSED_PAD src0_sel:WORD_0 src1_sel:DWORD
	v_mul_u32_u24_sdwa v41, v41, v28 dst_sel:DWORD dst_unused:UNUSED_PAD src0_sel:WORD_1 src1_sel:DWORD
	v_fmac_f32_e32 v45, 0x32a5705f, v35
	v_sub_f32_e32 v42, v42, v46
	v_mul_u32_u24_sdwa v61, v43, v28 dst_sel:DWORD dst_unused:UNUSED_PAD src0_sel:WORD_0 src1_sel:DWORD
	v_mul_u32_u24_sdwa v43, v43, v28 dst_sel:DWORD dst_unused:UNUSED_PAD src0_sel:WORD_1 src1_sel:DWORD
	v_ldexp_f32 v37, v37, v44
	v_cvt_i32_f32_e32 v44, v46
	v_add_f32_e32 v42, v42, v45
	v_mul_u32_u24_sdwa v68, v47, v28 dst_sel:DWORD dst_unused:UNUSED_PAD src0_sel:WORD_0 src1_sel:DWORD
	v_mul_u32_u24_sdwa v69, v47, v28 dst_sel:DWORD dst_unused:UNUSED_PAD src0_sel:WORD_1 src1_sel:DWORD
	v_cndmask_b32_e32 v37, 0, v37, vcc_lo
	v_cmp_nlt_f32_e32 vcc_lo, 0x42b17218, v36
	v_exp_f32_e32 v42, v42
	v_mul_u32_u24_sdwa v70, v48, v28 dst_sel:DWORD dst_unused:UNUSED_PAD src0_sel:WORD_0 src1_sel:DWORD
	v_mul_u32_u24_sdwa v71, v48, v28 dst_sel:DWORD dst_unused:UNUSED_PAD src0_sel:WORD_1 src1_sel:DWORD
	v_ldexp_f32 v42, v42, v44
	v_cndmask_b32_e64 v36, 0, v42, s0
	v_cmp_nlt_f32_e64 s0, 0x42b17218, v35
	v_cndmask_b32_e32 v42, 0x7f800000, v37, vcc_lo
	v_cndmask_b32_e64 v35, 0x7f800000, v36, s0
	s_or_b32 s0, s14, 16
	s_mul_hi_i32 s1, s0, s15
	s_mul_i32 s0, s0, s15
	v_fmac_f32_e32 v6, v34, v35
	v_mov_b32_e32 v34, v1
	v_cvt_f16_f32_e32 v35, v35
	v_mov_b32_e32 v1, v7
	s_lshl_b64 s[0:1], s[0:1], 2
	v_add_co_u32 v47, vcc_lo, v24, s0
	v_mul_u32_u24_sdwa v7, v35, v28 dst_sel:DWORD dst_unused:UNUSED_PAD src0_sel:WORD_0 src1_sel:DWORD
	v_fmac_f32_e32 v1, v34, v42
	ds_read2_b64 v[34:37], v29 offset1:32
	v_add_co_ci_u32_e64 v48, null, s1, v25, vcc_lo
	s_waitcnt lgkmcnt(0)
	v_pk_mul_f16 v44, v34, v53
	v_pk_mul_f16 v34, v34, v54
	v_pk_fma_f16 v32, v32, v7, v44
	v_pk_mul_f16 v7, v33, v7
	v_cvt_f16_f32_e32 v33, v42
	v_pk_fma_f16 v7, v35, v53, v7
	v_mul_u32_u24_sdwa v33, v33, v28 dst_sel:DWORD dst_unused:UNUSED_PAD src0_sel:WORD_0 src1_sel:DWORD
	v_pk_fma_f16 v7, v37, v55, v7
	v_pk_fma_f16 v31, v31, v33, v34
	v_pk_mul_f16 v26, v26, v33
	v_pk_fma_f16 v26, v35, v54, v26
	v_pk_fma_f16 v35, v36, v55, v32
	;; [unrolled: 1-line block ×3, first 2 shown]
	ds_read2_b64 v[31:34], v29 offset0:64 offset1:96
	v_pk_fma_f16 v26, v37, v38, v26
	s_waitcnt lgkmcnt(0)
	v_pk_fma_f16 v7, v32, v56, v7
	v_pk_fma_f16 v26, v32, v39, v26
	;; [unrolled: 1-line block ×4, first 2 shown]
	ds_read2_b64 v[35:38], v29 offset0:128 offset1:160
	v_pk_fma_f16 v7, v34, v57, v7
	v_pk_fma_f16 v26, v34, v40, v26
	;; [unrolled: 1-line block ×4, first 2 shown]
	ds_read2_b64 v[31:34], v29 offset0:192 offset1:224
	s_waitcnt lgkmcnt(1)
	v_pk_fma_f16 v7, v36, v58, v7
	v_pk_fma_f16 v26, v36, v41, v26
	;; [unrolled: 1-line block ×4, first 2 shown]
	ds_read2_b64 v[39:42], v30 offset1:32
	v_pk_fma_f16 v7, v38, v59, v7
	v_pk_fma_f16 v26, v38, v60, v26
	;; [unrolled: 1-line block ×4, first 2 shown]
	ds_read2_b64 v[35:38], v30 offset0:64 offset1:96
	s_waitcnt lgkmcnt(2)
	v_pk_fma_f16 v7, v32, v61, v7
	v_pk_fma_f16 v26, v32, v43, v26
	;; [unrolled: 1-line block ×4, first 2 shown]
	ds_read2_b64 v[43:46], v30 offset0:128 offset1:160
	v_pk_fma_f16 v7, v34, v62, v7
	v_pk_fma_f16 v26, v34, v63, v26
	;; [unrolled: 1-line block ×4, first 2 shown]
	ds_read2_b64 v[31:34], v30 offset0:192 offset1:224
	s_waitcnt lgkmcnt(0)
	s_barrier
	buffer_gl0_inv
	v_pk_fma_f16 v58, v39, v64, v53
	global_load_dwordx4 v[53:56], v[47:48], off
	v_pk_fma_f16 v7, v40, v64, v7
	v_pk_fma_f16 v26, v40, v65, v26
	;; [unrolled: 1-line block ×4, first 2 shown]
	v_mul_u32_u24_sdwa v40, v49, v28 dst_sel:DWORD dst_unused:UNUSED_PAD src0_sel:WORD_0 src1_sel:DWORD
	v_pk_fma_f16 v7, v42, v66, v7
	v_pk_fma_f16 v26, v42, v67, v26
	;; [unrolled: 1-line block ×3, first 2 shown]
	v_mul_u32_u24_sdwa v48, v49, v28 dst_sel:DWORD dst_unused:UNUSED_PAD src0_sel:WORD_1 src1_sel:DWORD
	v_mul_u32_u24_sdwa v41, v50, v28 dst_sel:DWORD dst_unused:UNUSED_PAD src0_sel:WORD_0 src1_sel:DWORD
	v_pk_fma_f16 v7, v36, v68, v7
	v_pk_fma_f16 v26, v36, v69, v26
	;; [unrolled: 1-line block ×4, first 2 shown]
	v_mul_u32_u24_sdwa v42, v50, v28 dst_sel:DWORD dst_unused:UNUSED_PAD src0_sel:WORD_1 src1_sel:DWORD
	v_pk_fma_f16 v7, v38, v70, v7
	v_pk_fma_f16 v26, v38, v71, v26
	;; [unrolled: 1-line block ×4, first 2 shown]
	v_mul_u32_u24_sdwa v49, v51, v28 dst_sel:DWORD dst_unused:UNUSED_PAD src0_sel:WORD_0 src1_sel:DWORD
	v_pk_fma_f16 v7, v44, v40, v7
	v_pk_fma_f16 v26, v44, v48, v26
	;; [unrolled: 1-line block ×4, first 2 shown]
	v_mul_u32_u24_sdwa v50, v51, v28 dst_sel:DWORD dst_unused:UNUSED_PAD src0_sel:WORD_1 src1_sel:DWORD
	v_pk_fma_f16 v7, v46, v41, v7
	v_pk_fma_f16 v26, v46, v42, v26
	;; [unrolled: 1-line block ×4, first 2 shown]
	v_mul_u32_u24_sdwa v51, v52, v28 dst_sel:DWORD dst_unused:UNUSED_PAD src0_sel:WORD_0 src1_sel:DWORD
	v_mul_u32_u24_sdwa v52, v52, v28 dst_sel:DWORD dst_unused:UNUSED_PAD src0_sel:WORD_1 src1_sel:DWORD
	v_pk_fma_f16 v7, v32, v49, v7
	v_pk_fma_f16 v26, v32, v50, v26
	v_pk_fma_f16 v32, v31, v49, v36
	v_pk_fma_f16 v31, v31, v50, v35
	v_pk_fma_f16 v7, v34, v51, v7
	v_pk_fma_f16 v26, v34, v52, v26
	v_pk_fma_f16 v59, v33, v51, v32
	v_pk_fma_f16 v60, v33, v52, v31
	s_waitcnt vmcnt(0)
	ds_write_b128 v23, v[53:56]
	s_waitcnt lgkmcnt(0)
	s_barrier
	buffer_gl0_inv
	ds_read_b128 v[31:34], v22 offset:64
	ds_read2_b64 v[35:38], v29 offset1:32
	ds_read_b128 v[39:42], v22 offset:80
	ds_read2_b64 v[43:46], v29 offset0:64 offset1:96
	ds_read2_b64 v[47:50], v29 offset0:128 offset1:160
	ds_read_b128 v[51:54], v22 offset:96
	ds_read_b128 v[55:58], v22 offset:112
	s_waitcnt lgkmcnt(6)
	v_mul_u32_u24_sdwa v61, v31, v28 dst_sel:DWORD dst_unused:UNUSED_PAD src0_sel:WORD_0 src1_sel:DWORD
	v_mul_u32_u24_sdwa v31, v31, v28 dst_sel:DWORD dst_unused:UNUSED_PAD src0_sel:WORD_1 src1_sel:DWORD
	v_mul_u32_u24_sdwa v62, v32, v28 dst_sel:DWORD dst_unused:UNUSED_PAD src0_sel:WORD_0 src1_sel:DWORD
	v_mul_u32_u24_sdwa v32, v32, v28 dst_sel:DWORD dst_unused:UNUSED_PAD src0_sel:WORD_1 src1_sel:DWORD
	s_waitcnt lgkmcnt(5)
	v_pk_fma_f16 v59, v35, v61, v59
	v_pk_fma_f16 v7, v36, v61, v7
	;; [unrolled: 1-line block ×4, first 2 shown]
	v_mul_u32_u24_sdwa v60, v33, v28 dst_sel:DWORD dst_unused:UNUSED_PAD src0_sel:WORD_1 src1_sel:DWORD
	v_pk_fma_f16 v31, v37, v62, v59
	v_pk_fma_f16 v7, v38, v62, v7
	;; [unrolled: 1-line block ×4, first 2 shown]
	v_mul_u32_u24_sdwa v32, v33, v28 dst_sel:DWORD dst_unused:UNUSED_PAD src0_sel:WORD_0 src1_sel:DWORD
	ds_read2_b64 v[35:38], v29 offset0:192 offset1:224
	v_mul_u32_u24_sdwa v61, v34, v28 dst_sel:DWORD dst_unused:UNUSED_PAD src0_sel:WORD_0 src1_sel:DWORD
	v_mul_u32_u24_sdwa v62, v34, v28 dst_sel:DWORD dst_unused:UNUSED_PAD src0_sel:WORD_1 src1_sel:DWORD
	s_waitcnt lgkmcnt(4)
	v_pk_fma_f16 v26, v44, v60, v26
	v_pk_fma_f16 v63, v43, v32, v31
	;; [unrolled: 1-line block ×4, first 2 shown]
	ds_read2_b64 v[31:34], v30 offset1:32
	v_pk_fma_f16 v26, v46, v62, v26
	v_pk_fma_f16 v59, v45, v61, v63
	;; [unrolled: 1-line block ×4, first 2 shown]
	v_mul_u32_u24_sdwa v61, v39, v28 dst_sel:DWORD dst_unused:UNUSED_PAD src0_sel:WORD_0 src1_sel:DWORD
	v_mul_u32_u24_sdwa v39, v39, v28 dst_sel:DWORD dst_unused:UNUSED_PAD src0_sel:WORD_1 src1_sel:DWORD
	v_mul_u32_u24_sdwa v62, v40, v28 dst_sel:DWORD dst_unused:UNUSED_PAD src0_sel:WORD_0 src1_sel:DWORD
	v_mul_u32_u24_sdwa v40, v40, v28 dst_sel:DWORD dst_unused:UNUSED_PAD src0_sel:WORD_1 src1_sel:DWORD
	ds_read2_b64 v[43:46], v30 offset0:64 offset1:96
	s_waitcnt lgkmcnt(5)
	v_pk_fma_f16 v59, v47, v61, v59
	v_pk_fma_f16 v7, v48, v61, v7
	;; [unrolled: 1-line block ×4, first 2 shown]
	v_mul_u32_u24_sdwa v60, v41, v28 dst_sel:DWORD dst_unused:UNUSED_PAD src0_sel:WORD_1 src1_sel:DWORD
	v_pk_fma_f16 v39, v49, v62, v59
	v_pk_fma_f16 v7, v50, v62, v7
	;; [unrolled: 1-line block ×4, first 2 shown]
	v_mul_u32_u24_sdwa v40, v41, v28 dst_sel:DWORD dst_unused:UNUSED_PAD src0_sel:WORD_0 src1_sel:DWORD
	v_mul_u32_u24_sdwa v61, v42, v28 dst_sel:DWORD dst_unused:UNUSED_PAD src0_sel:WORD_0 src1_sel:DWORD
	v_mul_u32_u24_sdwa v62, v42, v28 dst_sel:DWORD dst_unused:UNUSED_PAD src0_sel:WORD_1 src1_sel:DWORD
	ds_read2_b64 v[47:50], v30 offset0:128 offset1:160
	s_waitcnt lgkmcnt(3)
	v_pk_fma_f16 v26, v36, v60, v26
	v_pk_fma_f16 v63, v35, v40, v39
	;; [unrolled: 1-line block ×4, first 2 shown]
	v_mul_u32_u24_sdwa v36, v51, v28 dst_sel:DWORD dst_unused:UNUSED_PAD src0_sel:WORD_0 src1_sel:DWORD
	v_mul_u32_u24_sdwa v51, v51, v28 dst_sel:DWORD dst_unused:UNUSED_PAD src0_sel:WORD_1 src1_sel:DWORD
	v_pk_fma_f16 v59, v37, v61, v63
	v_pk_fma_f16 v7, v38, v61, v7
	;; [unrolled: 1-line block ×4, first 2 shown]
	v_mul_u32_u24_sdwa v37, v52, v28 dst_sel:DWORD dst_unused:UNUSED_PAD src0_sel:WORD_0 src1_sel:DWORD
	v_mul_u32_u24_sdwa v38, v52, v28 dst_sel:DWORD dst_unused:UNUSED_PAD src0_sel:WORD_1 src1_sel:DWORD
	s_waitcnt lgkmcnt(2)
	v_pk_fma_f16 v59, v31, v36, v59
	v_pk_fma_f16 v31, v31, v51, v35
	;; [unrolled: 1-line block ×4, first 2 shown]
	v_mul_u32_u24_sdwa v52, v53, v28 dst_sel:DWORD dst_unused:UNUSED_PAD src0_sel:WORD_0 src1_sel:DWORD
	v_mul_u32_u24_sdwa v53, v53, v28 dst_sel:DWORD dst_unused:UNUSED_PAD src0_sel:WORD_1 src1_sel:DWORD
	v_pk_fma_f16 v35, v33, v37, v59
	v_pk_fma_f16 v31, v33, v38, v31
	;; [unrolled: 1-line block ×4, first 2 shown]
	ds_read2_b64 v[39:42], v30 offset0:192 offset1:224
	v_mul_u32_u24_sdwa v60, v54, v28 dst_sel:DWORD dst_unused:UNUSED_PAD src0_sel:WORD_0 src1_sel:DWORD
	v_mul_u32_u24_sdwa v54, v54, v28 dst_sel:DWORD dst_unused:UNUSED_PAD src0_sel:WORD_1 src1_sel:DWORD
	s_waitcnt lgkmcnt(2)
	v_pk_fma_f16 v34, v43, v52, v35
	v_pk_fma_f16 v31, v43, v53, v31
	;; [unrolled: 1-line block ×4, first 2 shown]
	s_waitcnt lgkmcnt(0)
	s_barrier
	buffer_gl0_inv
	s_load_dword s0, s[6:7], 0x4
	v_mul_u32_u24_sdwa v61, v55, v28 dst_sel:DWORD dst_unused:UNUSED_PAD src0_sel:WORD_0 src1_sel:DWORD
	v_mul_u32_u24_sdwa v55, v55, v28 dst_sel:DWORD dst_unused:UNUSED_PAD src0_sel:WORD_1 src1_sel:DWORD
	v_pk_fma_f16 v34, v45, v60, v34
	v_pk_fma_f16 v31, v45, v54, v31
	v_pk_fma_f16 v7, v46, v60, v7
	v_pk_fma_f16 v26, v46, v54, v26
	v_mul_u32_u24_sdwa v62, v56, v28 dst_sel:DWORD dst_unused:UNUSED_PAD src0_sel:WORD_0 src1_sel:DWORD
	v_mul_u32_u24_sdwa v32, v56, v28 dst_sel:DWORD dst_unused:UNUSED_PAD src0_sel:WORD_1 src1_sel:DWORD
	v_pk_fma_f16 v34, v47, v61, v34
	v_pk_fma_f16 v31, v47, v55, v31
	v_pk_fma_f16 v7, v48, v61, v7
	v_pk_fma_f16 v26, v48, v55, v26
	;; [unrolled: 6-line block ×4, first 2 shown]
	s_waitcnt lgkmcnt(0)
	s_lshl_b32 s0, s0, 5
	v_pk_fma_f16 v32, v41, v36, v32
	v_pk_fma_f16 v31, v41, v37, v31
	;; [unrolled: 1-line block ×4, first 2 shown]
	s_add_i32 s14, s0, s14
	s_cmp_ge_i32 s14, s30
	s_cbranch_scc0 .LBB5_13
; %bb.14:
	v_mov_b32_e32 v3, v10
.LBB5_15:
	v_cmp_lt_i32_e32 vcc_lo, v17, v12
	s_cmp_lg_u64 s[16:17], 0
	s_cselect_b32 s0, -1, 0
	s_cmp_eq_u32 s28, 0
	v_cndmask_b32_e32 v7, v3, v17, vcc_lo
	v_cmp_lt_i32_e32 vcc_lo, v16, v12
	s_cselect_b32 s1, -1, 0
	s_and_b32 s0, s1, s0
	v_lshlrev_b32_e32 v7, 2, v7
	v_cndmask_b32_e32 v10, v3, v16, vcc_lo
	v_cmp_lt_i32_e32 vcc_lo, v15, v12
	ds_bpermute_b32 v8, v7, v6
	ds_bpermute_b32 v7, v7, v1
	v_lshlrev_b32_e32 v10, 2, v10
	s_waitcnt lgkmcnt(1)
	v_add_f32_e32 v6, v6, v8
	s_waitcnt lgkmcnt(0)
	v_add_f32_e32 v1, v1, v7
	ds_bpermute_b32 v7, v10, v6
	ds_bpermute_b32 v8, v10, v1
	v_cndmask_b32_e32 v10, v3, v15, vcc_lo
	v_cmp_lt_i32_e32 vcc_lo, v14, v12
	v_lshlrev_b32_e32 v10, 2, v10
	s_waitcnt lgkmcnt(1)
	v_add_f32_e32 v6, v6, v7
	s_waitcnt lgkmcnt(0)
	v_add_f32_e32 v1, v1, v8
	ds_bpermute_b32 v7, v10, v6
	ds_bpermute_b32 v8, v10, v1
	v_cndmask_b32_e32 v10, v3, v14, vcc_lo
	v_cmp_lt_i32_e32 vcc_lo, v13, v12
	v_lshlrev_b32_e32 v10, 2, v10
	v_cndmask_b32_e32 v3, v3, v13, vcc_lo
	s_and_b32 vcc_lo, exec_lo, s0
	s_mov_b32 s0, 0
	v_lshlrev_b32_e32 v3, 2, v3
	s_waitcnt lgkmcnt(1)
	v_add_f32_e32 v6, v6, v7
	s_waitcnt lgkmcnt(0)
	v_add_f32_e32 v1, v1, v8
	ds_bpermute_b32 v7, v10, v6
	ds_bpermute_b32 v8, v10, v1
	s_waitcnt lgkmcnt(1)
	v_add_f32_e32 v6, v6, v7
	s_waitcnt lgkmcnt(0)
	v_add_f32_e32 v1, v1, v8
	v_add_nc_u32_e32 v8, s33, v9
	ds_bpermute_b32 v7, v3, v6
	ds_bpermute_b32 v3, v3, v1
	s_waitcnt lgkmcnt(1)
	v_add_f32_e32 v6, v6, v7
	s_waitcnt lgkmcnt(0)
	v_add_f32_e32 v7, v1, v3
	s_cbranch_vccnz .LBB5_18
; %bb.16:
	v_add_nc_u32_e32 v1, s33, v9
	v_mov_b32_e32 v10, v7
	v_mov_b32_e32 v9, v6
	s_andn2_b32 vcc_lo, exec_lo, s0
	s_cbranch_vccz .LBB5_19
; %bb.17:
	v_mov_b32_e32 v8, v1
	s_branch .LBB5_20
.LBB5_18:
                                        ; implicit-def: $vgpr1
                                        ; implicit-def: $vgpr9_vgpr10
.LBB5_19:
	v_ashrrev_i32_e32 v9, 31, v8
	v_max_f32_e32 v1, v4, v4
	v_max_f32_e32 v13, v5, v5
	v_lshlrev_b64 v[9:10], 2, v[8:9]
	v_add_co_u32 v9, vcc_lo, s16, v9
	v_add_co_ci_u32_e64 v10, null, s17, v10, vcc_lo
	global_load_dwordx2 v[9:10], v[9:10], off
	s_waitcnt vmcnt(0)
	v_max_f32_e32 v3, v9, v9
	v_max_f32_e32 v14, v10, v10
	;; [unrolled: 1-line block ×4, first 2 shown]
	v_sub_f32_e32 v1, v4, v12
	v_sub_f32_e32 v3, v9, v12
	;; [unrolled: 1-line block ×4, first 2 shown]
	v_mul_f32_e32 v9, 0x3fb8aa3b, v1
	v_mul_f32_e32 v10, 0x3fb8aa3b, v3
	;; [unrolled: 1-line block ×4, first 2 shown]
	v_cmp_ngt_f32_e32 vcc_lo, 0xc2ce8ed0, v1
	v_fma_f32 v16, 0x3fb8aa3b, v1, -v9
	v_rndne_f32_e32 v17, v9
	v_fma_f32 v20, 0x3fb8aa3b, v4, -v14
	v_rndne_f32_e32 v21, v14
	v_fma_f32 v18, 0x3fb8aa3b, v3, -v10
	v_fmac_f32_e32 v16, 0x32a5705f, v1
	v_sub_f32_e32 v9, v9, v17
	v_rndne_f32_e32 v19, v10
	v_fmac_f32_e32 v20, 0x32a5705f, v4
	v_sub_f32_e32 v14, v14, v21
	v_fmac_f32_e32 v18, 0x32a5705f, v3
	v_add_f32_e32 v9, v9, v16
	v_sub_f32_e32 v10, v10, v19
	v_cvt_i32_f32_e32 v16, v17
	v_add_f32_e32 v14, v14, v20
	v_fma_f32 v22, 0x3fb8aa3b, v5, -v15
	v_exp_f32_e32 v9, v9
	v_add_f32_e32 v10, v10, v18
	v_rndne_f32_e32 v23, v15
	v_exp_f32_e32 v14, v14
	v_cvt_i32_f32_e32 v18, v21
	v_fmac_f32_e32 v22, 0x32a5705f, v5
	v_exp_f32_e32 v10, v10
	v_sub_f32_e32 v15, v15, v23
	v_cvt_i32_f32_e32 v17, v19
	v_cvt_i32_f32_e32 v19, v23
	v_ldexp_f32 v9, v9, v16
	v_mov_b32_e32 v20, 0x10001
	v_add_f32_e32 v15, v15, v22
	v_ldexp_f32 v14, v14, v18
	v_cndmask_b32_e32 v9, 0, v9, vcc_lo
	v_cmp_ngt_f32_e32 vcc_lo, 0xc2ce8ed0, v4
	v_ldexp_f32 v10, v10, v17
	v_exp_f32_e32 v15, v15
	v_cndmask_b32_e32 v14, 0, v14, vcc_lo
	v_cmp_ngt_f32_e32 vcc_lo, 0xc2ce8ed0, v3
	v_cndmask_b32_e32 v10, 0, v10, vcc_lo
	v_cmp_nlt_f32_e32 vcc_lo, 0x42b17218, v1
	v_ldexp_f32 v15, v15, v19
	v_cndmask_b32_e32 v1, 0x7f800000, v9, vcc_lo
	v_cmp_nlt_f32_e32 vcc_lo, 0x42b17218, v4
	v_cndmask_b32_e32 v14, 0x7f800000, v14, vcc_lo
	v_cmp_ngt_f32_e32 vcc_lo, 0xc2ce8ed0, v5
	v_cndmask_b32_e32 v4, 0, v15, vcc_lo
	v_cmp_nlt_f32_e32 vcc_lo, 0x42b17218, v3
	v_cvt_f16_f32_e32 v3, v1
	v_cvt_f16_f32_e32 v15, v14
	v_cndmask_b32_e32 v9, 0x7f800000, v10, vcc_lo
	v_cmp_nlt_f32_e32 vcc_lo, 0x42b17218, v5
	v_fmac_f32_e32 v9, v6, v1
	v_cndmask_b32_e32 v10, 0x7f800000, v4, vcc_lo
	v_mul_u32_u24_sdwa v1, v3, v20 dst_sel:DWORD dst_unused:UNUSED_PAD src0_sel:WORD_0 src1_sel:DWORD
	v_mul_u32_u24_sdwa v3, v15, v20 dst_sel:DWORD dst_unused:UNUSED_PAD src0_sel:WORD_0 src1_sel:DWORD
	v_mov_b32_e32 v4, v12
	v_mov_b32_e32 v5, v13
	v_fmac_f32_e32 v10, v7, v14
	v_mov_b32_e32 v6, v9
	v_pk_mul_f16 v32, v32, v1
	v_pk_mul_f16 v33, v33, v1
	;; [unrolled: 1-line block ×4, first 2 shown]
	v_mov_b32_e32 v7, v10
.LBB5_20:
	s_load_dword s1, s[4:5], 0xd4
	v_mov_b32_e32 v3, 1.0
	s_waitcnt lgkmcnt(0)
	s_cmp_lg_u32 s1, 1
	s_cselect_b32 s5, -1, 0
	s_cmp_eq_u32 s1, 1
	s_cselect_b32 s4, -1, 0
	s_and_b32 vcc_lo, exec_lo, s5
	s_cbranch_vccnz .LBB5_22
; %bb.21:
	v_div_scale_f32 v1, null, v6, v6, 1.0
	v_rcp_f32_e32 v3, v1
	v_fma_f32 v12, -v1, v3, 1.0
	v_fmac_f32_e32 v3, v12, v3
	v_div_scale_f32 v12, vcc_lo, 1.0, v6, 1.0
	v_mul_f32_e32 v13, v12, v3
	v_fma_f32 v14, -v1, v13, v12
	v_fmac_f32_e32 v13, v14, v3
	v_fma_f32 v1, -v1, v13, v12
	v_div_fmas_f32 v1, v1, v3, v13
	v_div_fixup_f32 v3, v1, v6, 1.0
.LBB5_22:
	v_mad_u64_u32 v[1:2], null, s29, s2, v[2:3]
	v_mov_b32_e32 v13, 0
	v_cmp_eq_u32_e32 vcc_lo, 0, v0
	v_cvt_f32_f16_e32 v0, v32
	v_cvt_f32_f16_e32 v6, v33
	v_mad_u64_u32 v[1:2], null, v1, s3, v[8:9]
	v_cvt_f32_f16_sdwa v8, v33 dst_sel:DWORD dst_unused:UNUSED_PAD src0_sel:WORD_1
	v_mul_f32_e32 v14, v3, v6
	v_mul_f32_e32 v15, v3, v8
	v_mad_u64_u32 v[1:2], null, s1, v1, s[28:29]
	v_cvt_f32_f16_sdwa v2, v32 dst_sel:DWORD dst_unused:UNUSED_PAD src0_sel:WORD_1
	v_lshl_add_u32 v12, v1, 7, v11
	v_lshlrev_b64 v[16:17], 2, v[12:13]
	v_mul_f32_e32 v13, v3, v2
	v_mul_f32_e32 v12, v3, v0
	v_add_co_u32 v2, s0, s20, v16
	v_add_co_ci_u32_e64 v3, null, s21, v17, s0
	s_and_b32 s0, vcc_lo, s5
	global_store_dwordx4 v[2:3], v[12:15], off
	s_and_saveexec_b32 s2, s0
	s_cbranch_execz .LBB5_24
; %bb.23:
	v_ashrrev_i32_e32 v2, 31, v1
	v_mov_b32_e32 v8, v4
	v_lshlrev_b64 v[2:3], 3, v[1:2]
	v_add_co_u32 v2, vcc_lo, s22, v2
	v_add_co_ci_u32_e64 v3, null, s23, v3, vcc_lo
	global_store_dwordx2 v[2:3], v[8:9], off
.LBB5_24:
	s_or_b32 exec_lo, exec_lo, s2
	v_mov_b32_e32 v2, 1.0
	s_andn2_b32 vcc_lo, exec_lo, s4
	s_cbranch_vccnz .LBB5_26
; %bb.25:
	v_div_scale_f32 v0, null, v7, v7, 1.0
	v_rcp_f32_e32 v2, v0
	v_fma_f32 v3, -v0, v2, 1.0
	v_fmac_f32_e32 v2, v3, v2
	v_div_scale_f32 v3, vcc_lo, 1.0, v7, 1.0
	v_mul_f32_e32 v4, v3, v2
	v_fma_f32 v6, -v0, v4, v3
	v_fmac_f32_e32 v4, v6, v2
	v_fma_f32 v0, -v0, v4, v3
	v_div_fmas_f32 v0, v0, v2, v4
	v_div_fixup_f32 v2, v0, v7, 1.0
.LBB5_26:
	v_add_nc_u32_e32 v0, s1, v1
	v_mov_b32_e32 v4, 0
	v_cvt_f32_f16_e32 v1, v31
	v_cvt_f32_f16_sdwa v7, v31 dst_sel:DWORD dst_unused:UNUSED_PAD src0_sel:WORD_1
	v_cvt_f32_f16_e32 v8, v26
	v_lshl_add_u32 v3, v0, 7, v11
	v_cvt_f32_f16_sdwa v9, v26 dst_sel:DWORD dst_unused:UNUSED_PAD src0_sel:WORD_1
	v_mul_f32_e32 v6, v2, v1
	v_mul_f32_e32 v7, v2, v7
	;; [unrolled: 1-line block ×3, first 2 shown]
	v_lshlrev_b64 v[3:4], 2, v[3:4]
	v_mul_f32_e32 v9, v2, v9
	v_add_co_u32 v1, vcc_lo, s20, v3
	v_add_co_ci_u32_e64 v2, null, s21, v4, vcc_lo
	global_store_dwordx4 v[1:2], v[6:9], off
	s_and_saveexec_b32 s1, s0
	s_cbranch_execz .LBB5_28
; %bb.27:
	v_ashrrev_i32_e32 v1, 31, v0
	v_mov_b32_e32 v9, v5
	v_lshlrev_b64 v[0:1], 3, v[0:1]
	v_add_co_u32 v0, vcc_lo, s22, v0
	v_add_co_ci_u32_e64 v1, null, s23, v1, vcc_lo
	global_store_dwordx2 v[0:1], v[9:10], off
.LBB5_28:
	s_endpgm
	.section	.rodata,"a",@progbits
	.p2align	6, 0x0
	.amdhsa_kernel _ZL15flash_attn_tileILi192ELi128ELi1ELi16ELb0EEvPKcS1_S1_S1_S1_PKiPfP15HIP_vector_typeIfLj2EEffffjfiS5_IjLj3EEiiiiiiiiiiiliiliiiiil
		.amdhsa_group_segment_fixed_size 11776
		.amdhsa_private_segment_fixed_size 0
		.amdhsa_kernarg_size 464
		.amdhsa_user_sgpr_count 6
		.amdhsa_user_sgpr_private_segment_buffer 1
		.amdhsa_user_sgpr_dispatch_ptr 0
		.amdhsa_user_sgpr_queue_ptr 0
		.amdhsa_user_sgpr_kernarg_segment_ptr 1
		.amdhsa_user_sgpr_dispatch_id 0
		.amdhsa_user_sgpr_flat_scratch_init 0
		.amdhsa_user_sgpr_private_segment_size 0
		.amdhsa_wavefront_size32 1
		.amdhsa_uses_dynamic_stack 0
		.amdhsa_system_sgpr_private_segment_wavefront_offset 0
		.amdhsa_system_sgpr_workgroup_id_x 1
		.amdhsa_system_sgpr_workgroup_id_y 1
		.amdhsa_system_sgpr_workgroup_id_z 1
		.amdhsa_system_sgpr_workgroup_info 0
		.amdhsa_system_vgpr_workitem_id 1
		.amdhsa_next_free_vgpr 72
		.amdhsa_next_free_sgpr 40
		.amdhsa_reserve_vcc 1
		.amdhsa_reserve_flat_scratch 0
		.amdhsa_float_round_mode_32 0
		.amdhsa_float_round_mode_16_64 0
		.amdhsa_float_denorm_mode_32 3
		.amdhsa_float_denorm_mode_16_64 3
		.amdhsa_dx10_clamp 1
		.amdhsa_ieee_mode 1
		.amdhsa_fp16_overflow 0
		.amdhsa_workgroup_processor_mode 1
		.amdhsa_memory_ordered 1
		.amdhsa_forward_progress 1
		.amdhsa_shared_vgpr_count 0
		.amdhsa_exception_fp_ieee_invalid_op 0
		.amdhsa_exception_fp_denorm_src 0
		.amdhsa_exception_fp_ieee_div_zero 0
		.amdhsa_exception_fp_ieee_overflow 0
		.amdhsa_exception_fp_ieee_underflow 0
		.amdhsa_exception_fp_ieee_inexact 0
		.amdhsa_exception_int_div_zero 0
	.end_amdhsa_kernel
	.section	.text._ZL15flash_attn_tileILi192ELi128ELi1ELi16ELb0EEvPKcS1_S1_S1_S1_PKiPfP15HIP_vector_typeIfLj2EEffffjfiS5_IjLj3EEiiiiiiiiiiiliiliiiiil,"axG",@progbits,_ZL15flash_attn_tileILi192ELi128ELi1ELi16ELb0EEvPKcS1_S1_S1_S1_PKiPfP15HIP_vector_typeIfLj2EEffffjfiS5_IjLj3EEiiiiiiiiiiiliiliiiiil,comdat
.Lfunc_end5:
	.size	_ZL15flash_attn_tileILi192ELi128ELi1ELi16ELb0EEvPKcS1_S1_S1_S1_PKiPfP15HIP_vector_typeIfLj2EEffffjfiS5_IjLj3EEiiiiiiiiiiiliiliiiiil, .Lfunc_end5-_ZL15flash_attn_tileILi192ELi128ELi1ELi16ELb0EEvPKcS1_S1_S1_S1_PKiPfP15HIP_vector_typeIfLj2EEffffjfiS5_IjLj3EEiiiiiiiiiiiliiliiiiil
                                        ; -- End function
	.set _ZL15flash_attn_tileILi192ELi128ELi1ELi16ELb0EEvPKcS1_S1_S1_S1_PKiPfP15HIP_vector_typeIfLj2EEffffjfiS5_IjLj3EEiiiiiiiiiiiliiliiiiil.num_vgpr, 72
	.set _ZL15flash_attn_tileILi192ELi128ELi1ELi16ELb0EEvPKcS1_S1_S1_S1_PKiPfP15HIP_vector_typeIfLj2EEffffjfiS5_IjLj3EEiiiiiiiiiiiliiliiiiil.num_agpr, 0
	.set _ZL15flash_attn_tileILi192ELi128ELi1ELi16ELb0EEvPKcS1_S1_S1_S1_PKiPfP15HIP_vector_typeIfLj2EEffffjfiS5_IjLj3EEiiiiiiiiiiiliiliiiiil.numbered_sgpr, 40
	.set _ZL15flash_attn_tileILi192ELi128ELi1ELi16ELb0EEvPKcS1_S1_S1_S1_PKiPfP15HIP_vector_typeIfLj2EEffffjfiS5_IjLj3EEiiiiiiiiiiiliiliiiiil.num_named_barrier, 0
	.set _ZL15flash_attn_tileILi192ELi128ELi1ELi16ELb0EEvPKcS1_S1_S1_S1_PKiPfP15HIP_vector_typeIfLj2EEffffjfiS5_IjLj3EEiiiiiiiiiiiliiliiiiil.private_seg_size, 0
	.set _ZL15flash_attn_tileILi192ELi128ELi1ELi16ELb0EEvPKcS1_S1_S1_S1_PKiPfP15HIP_vector_typeIfLj2EEffffjfiS5_IjLj3EEiiiiiiiiiiiliiliiiiil.uses_vcc, 1
	.set _ZL15flash_attn_tileILi192ELi128ELi1ELi16ELb0EEvPKcS1_S1_S1_S1_PKiPfP15HIP_vector_typeIfLj2EEffffjfiS5_IjLj3EEiiiiiiiiiiiliiliiiiil.uses_flat_scratch, 0
	.set _ZL15flash_attn_tileILi192ELi128ELi1ELi16ELb0EEvPKcS1_S1_S1_S1_PKiPfP15HIP_vector_typeIfLj2EEffffjfiS5_IjLj3EEiiiiiiiiiiiliiliiiiil.has_dyn_sized_stack, 0
	.set _ZL15flash_attn_tileILi192ELi128ELi1ELi16ELb0EEvPKcS1_S1_S1_S1_PKiPfP15HIP_vector_typeIfLj2EEffffjfiS5_IjLj3EEiiiiiiiiiiiliiliiiiil.has_recursion, 0
	.set _ZL15flash_attn_tileILi192ELi128ELi1ELi16ELb0EEvPKcS1_S1_S1_S1_PKiPfP15HIP_vector_typeIfLj2EEffffjfiS5_IjLj3EEiiiiiiiiiiiliiliiiiil.has_indirect_call, 0
	.section	.AMDGPU.csdata,"",@progbits
; Kernel info:
; codeLenInByte = 10828
; TotalNumSgprs: 42
; NumVgprs: 72
; ScratchSize: 0
; MemoryBound: 0
; FloatMode: 240
; IeeeMode: 1
; LDSByteSize: 11776 bytes/workgroup (compile time only)
; SGPRBlocks: 0
; VGPRBlocks: 8
; NumSGPRsForWavesPerEU: 42
; NumVGPRsForWavesPerEU: 72
; Occupancy: 12
; WaveLimiterHint : 1
; COMPUTE_PGM_RSRC2:SCRATCH_EN: 0
; COMPUTE_PGM_RSRC2:USER_SGPR: 6
; COMPUTE_PGM_RSRC2:TRAP_HANDLER: 0
; COMPUTE_PGM_RSRC2:TGID_X_EN: 1
; COMPUTE_PGM_RSRC2:TGID_Y_EN: 1
; COMPUTE_PGM_RSRC2:TGID_Z_EN: 1
; COMPUTE_PGM_RSRC2:TIDIG_COMP_CNT: 1
	.section	.text._ZL25flash_attn_mask_to_KV_maxILi1EEvPK7__half2Piiii,"axG",@progbits,_ZL25flash_attn_mask_to_KV_maxILi1EEvPK7__half2Piiii,comdat
	.globl	_ZL25flash_attn_mask_to_KV_maxILi1EEvPK7__half2Piiii ; -- Begin function _ZL25flash_attn_mask_to_KV_maxILi1EEvPK7__half2Piiii
	.p2align	8
	.type	_ZL25flash_attn_mask_to_KV_maxILi1EEvPK7__half2Piiii,@function
_ZL25flash_attn_mask_to_KV_maxILi1EEvPK7__half2Piiii: ; @_ZL25flash_attn_mask_to_KV_maxILi1EEvPK7__half2Piiii
; %bb.0:
	s_load_dwordx4 s[8:11], s[4:5], 0x0
	s_mov_b32 s0, exec_lo
	v_cmpx_gt_u32_e32 32, v0
; %bb.1:
	v_lshlrev_b32_e32 v1, 2, v0
	v_mov_b32_e32 v2, 1
	ds_write_b32 v1, v2
; %bb.2:
	s_or_b32 exec_lo, exec_lo, s0
	s_clause 0x1
	s_load_dwordx4 s[12:15], s[4:5], 0x10
	s_load_dword s1, s[4:5], 0x20
	v_and_b32_e32 v1, 31, v0
	v_lshrrev_b32_e32 v3, 3, v0
	v_mov_b32_e32 v2, 0
	v_mov_b32_e32 v4, 0x204
	s_waitcnt lgkmcnt(0)
	v_lshlrev_b32_e32 v5, 2, v1
	s_barrier
	buffer_gl0_inv
	s_mul_i32 s0, s14, s7
	s_mul_i32 s2, s13, s6
	s_add_i32 s2, s0, s2
	v_cmp_eq_u32_e64 s0, 0, v1
	s_ashr_i32 s3, s2, 31
	s_lshl_b64 s[4:5], s[2:3], 2
	s_add_u32 s3, s8, s4
	s_addc_u32 s4, s9, s5
	s_lshl_b32 s5, s12, 8
	s_branch .LBB6_4
	.p2align	6
.LBB6_3:                                ;   in Loop: Header=BB6_4 Depth=1
	s_or_b32 exec_lo, exec_lo, s9
	s_waitcnt lgkmcnt(0)
	s_barrier
	buffer_gl0_inv
	ds_read_b32 v1, v5
	s_waitcnt lgkmcnt(0)
	s_barrier
	buffer_gl0_inv
	v_cmp_ne_u32_e32 vcc_lo, 0, v1
	s_cmp_lg_u32 vcc_lo, exec_lo
	s_cselect_b32 s8, -1, 0
	s_and_b32 vcc_lo, exec_lo, s8
	s_cbranch_vccnz .LBB6_8
.LBB6_4:                                ; =>This Inner Loop Header: Depth=1
	s_mov_b32 s2, s5
	s_addk_i32 s5, 0xff00
	s_cmp_lt_i32 s5, 0
	s_cbranch_scc1 .LBB6_7
; %bb.5:                                ;   in Loop: Header=BB6_4 Depth=1
	s_lshr_b32 s9, s5, 1
	s_mov_b32 s8, exec_lo
	v_add_nc_u32_e32 v1, s9, v0
	v_lshlrev_b64 v[6:7], 2, v[1:2]
	v_add_co_u32 v6, vcc_lo, s3, v6
	v_add_co_ci_u32_e64 v7, null, s4, v7, vcc_lo
	global_load_dword v1, v[6:7], off
	s_waitcnt vmcnt(0)
	v_cmp_class_f16_e64 s9, v1, 0x204
	v_cmp_class_f16_sdwa s12, v1, v4 src0_sel:WORD_1 src1_sel:DWORD
	s_and_b32 s9, s9, s12
	v_cndmask_b32_e64 v1, 0, 1, s9
	v_cmp_ne_u32_e32 vcc_lo, 0, v1
	s_and_saveexec_b32 s9, s0
	s_cbranch_execz .LBB6_3
; %bb.6:                                ;   in Loop: Header=BB6_4 Depth=1
	s_cmp_eq_u32 vcc_lo, s8
	s_cselect_b32 s8, -1, 0
	v_cndmask_b32_e64 v1, 0, 1, s8
	ds_write_b32 v3, v1
	s_branch .LBB6_3
.LBB6_7:                                ;   in Loop: Header=BB6_4 Depth=1
	s_cbranch_execz .LBB6_4
.LBB6_8:
	s_mov_b32 s0, exec_lo
	v_cmpx_eq_u32_e32 0, v0
	s_cbranch_execz .LBB6_10
; %bb.9:
	s_mul_i32 s0, s1, s7
	v_mov_b32_e32 v0, 0
	s_add_i32 s0, s0, s6
	v_mov_b32_e32 v1, s2
	s_ashr_i32 s1, s0, 31
	s_lshl_b64 s[0:1], s[0:1], 2
	s_add_u32 s0, s10, s0
	s_addc_u32 s1, s11, s1
	global_store_dword v0, v1, s[0:1]
.LBB6_10:
	s_endpgm
	.section	.rodata,"a",@progbits
	.p2align	6, 0x0
	.amdhsa_kernel _ZL25flash_attn_mask_to_KV_maxILi1EEvPK7__half2Piiii
		.amdhsa_group_segment_fixed_size 128
		.amdhsa_private_segment_fixed_size 0
		.amdhsa_kernarg_size 288
		.amdhsa_user_sgpr_count 6
		.amdhsa_user_sgpr_private_segment_buffer 1
		.amdhsa_user_sgpr_dispatch_ptr 0
		.amdhsa_user_sgpr_queue_ptr 0
		.amdhsa_user_sgpr_kernarg_segment_ptr 1
		.amdhsa_user_sgpr_dispatch_id 0
		.amdhsa_user_sgpr_flat_scratch_init 0
		.amdhsa_user_sgpr_private_segment_size 0
		.amdhsa_wavefront_size32 1
		.amdhsa_uses_dynamic_stack 0
		.amdhsa_system_sgpr_private_segment_wavefront_offset 0
		.amdhsa_system_sgpr_workgroup_id_x 1
		.amdhsa_system_sgpr_workgroup_id_y 1
		.amdhsa_system_sgpr_workgroup_id_z 0
		.amdhsa_system_sgpr_workgroup_info 0
		.amdhsa_system_vgpr_workitem_id 0
		.amdhsa_next_free_vgpr 8
		.amdhsa_next_free_sgpr 16
		.amdhsa_reserve_vcc 1
		.amdhsa_reserve_flat_scratch 0
		.amdhsa_float_round_mode_32 0
		.amdhsa_float_round_mode_16_64 0
		.amdhsa_float_denorm_mode_32 3
		.amdhsa_float_denorm_mode_16_64 3
		.amdhsa_dx10_clamp 1
		.amdhsa_ieee_mode 1
		.amdhsa_fp16_overflow 0
		.amdhsa_workgroup_processor_mode 1
		.amdhsa_memory_ordered 1
		.amdhsa_forward_progress 1
		.amdhsa_shared_vgpr_count 0
		.amdhsa_exception_fp_ieee_invalid_op 0
		.amdhsa_exception_fp_denorm_src 0
		.amdhsa_exception_fp_ieee_div_zero 0
		.amdhsa_exception_fp_ieee_overflow 0
		.amdhsa_exception_fp_ieee_underflow 0
		.amdhsa_exception_fp_ieee_inexact 0
		.amdhsa_exception_int_div_zero 0
	.end_amdhsa_kernel
	.section	.text._ZL25flash_attn_mask_to_KV_maxILi1EEvPK7__half2Piiii,"axG",@progbits,_ZL25flash_attn_mask_to_KV_maxILi1EEvPK7__half2Piiii,comdat
.Lfunc_end6:
	.size	_ZL25flash_attn_mask_to_KV_maxILi1EEvPK7__half2Piiii, .Lfunc_end6-_ZL25flash_attn_mask_to_KV_maxILi1EEvPK7__half2Piiii
                                        ; -- End function
	.set _ZL25flash_attn_mask_to_KV_maxILi1EEvPK7__half2Piiii.num_vgpr, 8
	.set _ZL25flash_attn_mask_to_KV_maxILi1EEvPK7__half2Piiii.num_agpr, 0
	.set _ZL25flash_attn_mask_to_KV_maxILi1EEvPK7__half2Piiii.numbered_sgpr, 16
	.set _ZL25flash_attn_mask_to_KV_maxILi1EEvPK7__half2Piiii.num_named_barrier, 0
	.set _ZL25flash_attn_mask_to_KV_maxILi1EEvPK7__half2Piiii.private_seg_size, 0
	.set _ZL25flash_attn_mask_to_KV_maxILi1EEvPK7__half2Piiii.uses_vcc, 1
	.set _ZL25flash_attn_mask_to_KV_maxILi1EEvPK7__half2Piiii.uses_flat_scratch, 0
	.set _ZL25flash_attn_mask_to_KV_maxILi1EEvPK7__half2Piiii.has_dyn_sized_stack, 0
	.set _ZL25flash_attn_mask_to_KV_maxILi1EEvPK7__half2Piiii.has_recursion, 0
	.set _ZL25flash_attn_mask_to_KV_maxILi1EEvPK7__half2Piiii.has_indirect_call, 0
	.section	.AMDGPU.csdata,"",@progbits
; Kernel info:
; codeLenInByte = 452
; TotalNumSgprs: 18
; NumVgprs: 8
; ScratchSize: 0
; MemoryBound: 0
; FloatMode: 240
; IeeeMode: 1
; LDSByteSize: 128 bytes/workgroup (compile time only)
; SGPRBlocks: 0
; VGPRBlocks: 0
; NumSGPRsForWavesPerEU: 18
; NumVGPRsForWavesPerEU: 8
; Occupancy: 16
; WaveLimiterHint : 0
; COMPUTE_PGM_RSRC2:SCRATCH_EN: 0
; COMPUTE_PGM_RSRC2:USER_SGPR: 6
; COMPUTE_PGM_RSRC2:TRAP_HANDLER: 0
; COMPUTE_PGM_RSRC2:TGID_X_EN: 1
; COMPUTE_PGM_RSRC2:TGID_Y_EN: 1
; COMPUTE_PGM_RSRC2:TGID_Z_EN: 0
; COMPUTE_PGM_RSRC2:TIDIG_COMP_CNT: 0
	.section	.text._ZL33flash_attn_stream_k_fixup_uniformILi128ELi1ELi16EEvPfPK15HIP_vector_typeIfLj2EEiiiiiiS1_IjLj3EES5_S5_,"axG",@progbits,_ZL33flash_attn_stream_k_fixup_uniformILi128ELi1ELi16EEvPfPK15HIP_vector_typeIfLj2EEiiiiiiS1_IjLj3EES5_S5_,comdat
	.globl	_ZL33flash_attn_stream_k_fixup_uniformILi128ELi1ELi16EEvPfPK15HIP_vector_typeIfLj2EEiiiiiiS1_IjLj3EES5_S5_ ; -- Begin function _ZL33flash_attn_stream_k_fixup_uniformILi128ELi1ELi16EEvPfPK15HIP_vector_typeIfLj2EEiiiiiiS1_IjLj3EES5_S5_
	.p2align	8
	.type	_ZL33flash_attn_stream_k_fixup_uniformILi128ELi1ELi16EEvPfPK15HIP_vector_typeIfLj2EEiiiiiiS1_IjLj3EES5_S5_,@function
_ZL33flash_attn_stream_k_fixup_uniformILi128ELi1ELi16EEvPfPK15HIP_vector_typeIfLj2EEiiiiiiS1_IjLj3EES5_S5_: ; @_ZL33flash_attn_stream_k_fixup_uniformILi128ELi1ELi16EEvPfPK15HIP_vector_typeIfLj2EEiiiiiiS1_IjLj3EES5_S5_
; %bb.0:
	s_clause 0x1
	s_load_dwordx8 s[12:19], s[4:5], 0x1c
	s_load_dwordx4 s[0:3], s[4:5], 0x3c
	s_waitcnt lgkmcnt(0)
	s_mul_hi_u32 s9, s15, s6
	s_add_i32 s9, s6, s9
	s_lshr_b32 s9, s9, s16
	s_mul_i32 s10, s9, s17
	s_sub_i32 s16, s6, s10
	s_load_dwordx2 s[10:11], s[4:5], 0x10
	s_mul_hi_u32 s15, s16, s18
	s_add_i32 s15, s16, s15
	s_lshr_b32 s15, s15, s19
	s_mul_i32 s0, s15, s0
	s_sub_i32 s0, s16, s0
	s_mul_hi_u32 s1, s0, s1
	s_add_i32 s1, s0, s1
	s_lshr_b32 s1, s1, s2
	s_mul_i32 s2, s1, s3
	s_lshl_b32 s17, s1, 4
	s_sub_i32 s16, s0, s2
	s_add_i32 s16, s16, s7
	s_waitcnt lgkmcnt(0)
	s_cmp_lt_i32 s16, s10
	s_cselect_b32 s0, -1, 0
	s_add_i32 s17, s17, s8
	s_cmp_lt_i32 s17, s13
	s_cselect_b32 s1, -1, 0
	s_and_b32 s0, s0, s1
	s_andn2_b32 vcc_lo, exec_lo, s0
	s_cbranch_vccnz .LBB7_6
; %bb.1:
	s_mul_i32 s9, s9, s10
	s_load_dwordx4 s[0:3], s[4:5], 0x0
	s_mul_i32 s15, s15, s13
	s_add_i32 s4, s16, s9
	s_add_i32 s5, s17, s15
	s_mul_i32 s4, s4, s11
	s_add_i32 s5, s5, s4
	s_mul_i32 s4, s14, s6
	v_lshl_or_b32 v1, s5, 7, v0
	s_add_i32 s10, s4, s14
	v_ashrrev_i32_e32 v2, 31, v1
	v_lshlrev_b64 v[1:2], 2, v[1:2]
	s_waitcnt lgkmcnt(0)
	v_add_co_u32 v1, vcc_lo, s0, v1
	v_add_co_ci_u32_e64 v2, null, s1, v2, vcc_lo
	s_add_i32 s0, s7, s10
	s_lshl_b32 s0, s0, 4
	global_load_dword v5, v[1:2], off
	s_add_i32 s0, s0, s8
	s_add_i32 s0, s0, -16
	s_ashr_i32 s1, s0, 31
	s_lshl_b64 s[0:1], s[0:1], 3
	s_add_u32 s0, s2, s0
	s_addc_u32 s1, s3, s1
	s_add_i32 s5, s10, -2
	s_load_dword s11, s[0:1], 0x4
	s_cmp_lt_i32 s5, s4
	s_cbranch_scc1 .LBB7_4
; %bb.2:
	s_lshl_b32 s16, s12, 6
	s_load_dword s13, s[0:1], 0x0
	s_ashr_i32 s17, s16, 31
	s_waitcnt lgkmcnt(0)
	v_mov_b32_e32 v6, s11
	s_lshl_b64 s[0:1], s[16:17], 2
	s_add_u32 s5, s2, s0
	s_addc_u32 s9, s3, s1
	s_add_i32 s6, s6, 1
	s_lshl_b32 s0, s8, 7
	s_lshl_b32 s1, s7, 11
	s_mul_i32 s6, s14, s6
	s_add_i32 s0, s0, s1
	s_lshl_b32 s1, s6, 11
	s_add_i32 s6, s10, -1
	s_add_i32 s0, s0, s1
	s_add_i32 s1, s7, s12
	v_or_b32_e32 v0, s0, v0
	s_add_i32 s1, s1, s10
	s_lshl_b32 s0, s1, 4
	v_add_nc_u32_e32 v3, 0xfffff000, v0
	v_mov_b32_e32 v0, s13
	s_add_i32 s8, s8, s0
	s_sub_i32 s0, s8, 32
.LBB7_3:                                ; =>This Inner Loop Header: Depth=1
	v_ashrrev_i32_e32 v4, 31, v3
	s_ashr_i32 s1, s0, 31
	s_lshl_b64 s[10:11], s[0:1], 3
	s_add_u32 s10, s2, s10
	v_lshlrev_b64 v[7:8], 2, v[3:4]
	s_addc_u32 s11, s3, s11
	v_add_nc_u32_e32 v3, 0xfffff800, v3
	s_add_i32 s6, s6, -1
	s_add_i32 s0, s0, -16
	s_cmp_le_i32 s6, s4
	v_add_co_u32 v7, vcc_lo, s5, v7
	v_add_co_ci_u32_e64 v8, null, s9, v8, vcc_lo
	s_load_dwordx2 s[10:11], s[10:11], 0x0
	global_load_dword v4, v[7:8], off
	v_max_f32_e32 v7, v0, v0
	s_waitcnt lgkmcnt(0)
	v_max_f32_e64 v8, s10, s10
	v_max_f32_e32 v7, v7, v8
	v_sub_f32_e32 v8, s10, v7
	v_sub_f32_e32 v0, v0, v7
	v_mul_f32_e32 v9, 0x3fb8aa3b, v8
	v_mul_f32_e32 v12, 0x3fb8aa3b, v0
	v_cmp_ngt_f32_e32 vcc_lo, 0xc2ce8ed0, v8
	v_fma_f32 v10, 0x3fb8aa3b, v8, -v9
	v_rndne_f32_e32 v11, v9
	v_fma_f32 v13, 0x3fb8aa3b, v0, -v12
	v_rndne_f32_e32 v14, v12
	v_fmac_f32_e32 v10, 0x32a5705f, v8
	v_sub_f32_e32 v9, v9, v11
	v_fmac_f32_e32 v13, 0x32a5705f, v0
	v_cvt_i32_f32_e32 v11, v11
	v_add_f32_e32 v9, v9, v10
	v_sub_f32_e32 v10, v12, v14
	v_exp_f32_e32 v9, v9
	v_add_f32_e32 v10, v10, v13
	v_exp_f32_e32 v10, v10
	v_ldexp_f32 v9, v9, v11
	v_cvt_i32_f32_e32 v11, v14
	v_cndmask_b32_e32 v9, 0, v9, vcc_lo
	v_cmp_nlt_f32_e32 vcc_lo, 0x42b17218, v8
	v_ldexp_f32 v10, v10, v11
	v_mov_b32_e32 v11, v6
	v_cndmask_b32_e32 v9, 0x7f800000, v9, vcc_lo
	v_cmp_ngt_f32_e32 vcc_lo, 0xc2ce8ed0, v0
	v_cndmask_b32_e32 v10, 0, v10, vcc_lo
	v_cmp_le_f32_e32 vcc_lo, 0xc1a00000, v8
	v_cndmask_b32_e32 v8, 0, v9, vcc_lo
	v_cmp_nlt_f32_e32 vcc_lo, 0x42b17218, v0
	s_waitcnt vmcnt(1)
	v_mov_b32_e32 v9, v5
	v_cndmask_b32_e32 v5, 0x7f800000, v10, vcc_lo
	v_mul_f32_e32 v10, s11, v8
	v_cmp_le_f32_e32 vcc_lo, 0xc1a00000, v0
	v_mov_b32_e32 v0, v7
	v_mov_b32_e32 v6, v10
	v_cndmask_b32_e32 v12, 0, v5, vcc_lo
	v_fmac_f32_e32 v6, v11, v12
	s_waitcnt vmcnt(0)
	v_mul_f32_e32 v5, v4, v8
	v_fmac_f32_e32 v5, v9, v12
	s_cbranch_scc0 .LBB7_3
	s_branch .LBB7_5
.LBB7_4:
	s_waitcnt lgkmcnt(0)
	v_mov_b32_e32 v6, s11
.LBB7_5:
	s_waitcnt vmcnt(0)
	v_div_scale_f32 v0, null, v6, v6, v5
	v_rcp_f32_e32 v3, v0
	v_fma_f32 v4, -v0, v3, 1.0
	v_fmac_f32_e32 v3, v4, v3
	v_div_scale_f32 v4, vcc_lo, v5, v6, v5
	v_mul_f32_e32 v7, v4, v3
	v_fma_f32 v8, -v0, v7, v4
	v_fmac_f32_e32 v7, v8, v3
	v_fma_f32 v0, -v0, v7, v4
	v_div_fmas_f32 v0, v0, v3, v7
	v_div_fixup_f32 v0, v0, v6, v5
	global_store_dword v[1:2], v0, off
.LBB7_6:
	s_endpgm
	.section	.rodata,"a",@progbits
	.p2align	6, 0x0
	.amdhsa_kernel _ZL33flash_attn_stream_k_fixup_uniformILi128ELi1ELi16EEvPfPK15HIP_vector_typeIfLj2EEiiiiiiS1_IjLj3EES5_S5_
		.amdhsa_group_segment_fixed_size 0
		.amdhsa_private_segment_fixed_size 0
		.amdhsa_kernarg_size 76
		.amdhsa_user_sgpr_count 6
		.amdhsa_user_sgpr_private_segment_buffer 1
		.amdhsa_user_sgpr_dispatch_ptr 0
		.amdhsa_user_sgpr_queue_ptr 0
		.amdhsa_user_sgpr_kernarg_segment_ptr 1
		.amdhsa_user_sgpr_dispatch_id 0
		.amdhsa_user_sgpr_flat_scratch_init 0
		.amdhsa_user_sgpr_private_segment_size 0
		.amdhsa_wavefront_size32 1
		.amdhsa_uses_dynamic_stack 0
		.amdhsa_system_sgpr_private_segment_wavefront_offset 0
		.amdhsa_system_sgpr_workgroup_id_x 1
		.amdhsa_system_sgpr_workgroup_id_y 1
		.amdhsa_system_sgpr_workgroup_id_z 1
		.amdhsa_system_sgpr_workgroup_info 0
		.amdhsa_system_vgpr_workitem_id 0
		.amdhsa_next_free_vgpr 15
		.amdhsa_next_free_sgpr 20
		.amdhsa_reserve_vcc 1
		.amdhsa_reserve_flat_scratch 0
		.amdhsa_float_round_mode_32 0
		.amdhsa_float_round_mode_16_64 0
		.amdhsa_float_denorm_mode_32 3
		.amdhsa_float_denorm_mode_16_64 3
		.amdhsa_dx10_clamp 1
		.amdhsa_ieee_mode 1
		.amdhsa_fp16_overflow 0
		.amdhsa_workgroup_processor_mode 1
		.amdhsa_memory_ordered 1
		.amdhsa_forward_progress 1
		.amdhsa_shared_vgpr_count 0
		.amdhsa_exception_fp_ieee_invalid_op 0
		.amdhsa_exception_fp_denorm_src 0
		.amdhsa_exception_fp_ieee_div_zero 0
		.amdhsa_exception_fp_ieee_overflow 0
		.amdhsa_exception_fp_ieee_underflow 0
		.amdhsa_exception_fp_ieee_inexact 0
		.amdhsa_exception_int_div_zero 0
	.end_amdhsa_kernel
	.section	.text._ZL33flash_attn_stream_k_fixup_uniformILi128ELi1ELi16EEvPfPK15HIP_vector_typeIfLj2EEiiiiiiS1_IjLj3EES5_S5_,"axG",@progbits,_ZL33flash_attn_stream_k_fixup_uniformILi128ELi1ELi16EEvPfPK15HIP_vector_typeIfLj2EEiiiiiiS1_IjLj3EES5_S5_,comdat
.Lfunc_end7:
	.size	_ZL33flash_attn_stream_k_fixup_uniformILi128ELi1ELi16EEvPfPK15HIP_vector_typeIfLj2EEiiiiiiS1_IjLj3EES5_S5_, .Lfunc_end7-_ZL33flash_attn_stream_k_fixup_uniformILi128ELi1ELi16EEvPfPK15HIP_vector_typeIfLj2EEiiiiiiS1_IjLj3EES5_S5_
                                        ; -- End function
	.set _ZL33flash_attn_stream_k_fixup_uniformILi128ELi1ELi16EEvPfPK15HIP_vector_typeIfLj2EEiiiiiiS1_IjLj3EES5_S5_.num_vgpr, 15
	.set _ZL33flash_attn_stream_k_fixup_uniformILi128ELi1ELi16EEvPfPK15HIP_vector_typeIfLj2EEiiiiiiS1_IjLj3EES5_S5_.num_agpr, 0
	.set _ZL33flash_attn_stream_k_fixup_uniformILi128ELi1ELi16EEvPfPK15HIP_vector_typeIfLj2EEiiiiiiS1_IjLj3EES5_S5_.numbered_sgpr, 20
	.set _ZL33flash_attn_stream_k_fixup_uniformILi128ELi1ELi16EEvPfPK15HIP_vector_typeIfLj2EEiiiiiiS1_IjLj3EES5_S5_.num_named_barrier, 0
	.set _ZL33flash_attn_stream_k_fixup_uniformILi128ELi1ELi16EEvPfPK15HIP_vector_typeIfLj2EEiiiiiiS1_IjLj3EES5_S5_.private_seg_size, 0
	.set _ZL33flash_attn_stream_k_fixup_uniformILi128ELi1ELi16EEvPfPK15HIP_vector_typeIfLj2EEiiiiiiS1_IjLj3EES5_S5_.uses_vcc, 1
	.set _ZL33flash_attn_stream_k_fixup_uniformILi128ELi1ELi16EEvPfPK15HIP_vector_typeIfLj2EEiiiiiiS1_IjLj3EES5_S5_.uses_flat_scratch, 0
	.set _ZL33flash_attn_stream_k_fixup_uniformILi128ELi1ELi16EEvPfPK15HIP_vector_typeIfLj2EEiiiiiiS1_IjLj3EES5_S5_.has_dyn_sized_stack, 0
	.set _ZL33flash_attn_stream_k_fixup_uniformILi128ELi1ELi16EEvPfPK15HIP_vector_typeIfLj2EEiiiiiiS1_IjLj3EES5_S5_.has_recursion, 0
	.set _ZL33flash_attn_stream_k_fixup_uniformILi128ELi1ELi16EEvPfPK15HIP_vector_typeIfLj2EEiiiiiiS1_IjLj3EES5_S5_.has_indirect_call, 0
	.section	.AMDGPU.csdata,"",@progbits
; Kernel info:
; codeLenInByte = 824
; TotalNumSgprs: 22
; NumVgprs: 15
; ScratchSize: 0
; MemoryBound: 0
; FloatMode: 240
; IeeeMode: 1
; LDSByteSize: 0 bytes/workgroup (compile time only)
; SGPRBlocks: 0
; VGPRBlocks: 1
; NumSGPRsForWavesPerEU: 22
; NumVGPRsForWavesPerEU: 15
; Occupancy: 16
; WaveLimiterHint : 0
; COMPUTE_PGM_RSRC2:SCRATCH_EN: 0
; COMPUTE_PGM_RSRC2:USER_SGPR: 6
; COMPUTE_PGM_RSRC2:TRAP_HANDLER: 0
; COMPUTE_PGM_RSRC2:TGID_X_EN: 1
; COMPUTE_PGM_RSRC2:TGID_Y_EN: 1
; COMPUTE_PGM_RSRC2:TGID_Z_EN: 1
; COMPUTE_PGM_RSRC2:TIDIG_COMP_CNT: 0
	.section	.text._ZL33flash_attn_stream_k_fixup_generalILi128ELi1ELi16EEvPfPK15HIP_vector_typeIfLj2EEiiiiS1_IjLj3EES5_S5_S5_,"axG",@progbits,_ZL33flash_attn_stream_k_fixup_generalILi128ELi1ELi16EEvPfPK15HIP_vector_typeIfLj2EEiiiiS1_IjLj3EES5_S5_S5_,comdat
	.globl	_ZL33flash_attn_stream_k_fixup_generalILi128ELi1ELi16EEvPfPK15HIP_vector_typeIfLj2EEiiiiS1_IjLj3EES5_S5_S5_ ; -- Begin function _ZL33flash_attn_stream_k_fixup_generalILi128ELi1ELi16EEvPfPK15HIP_vector_typeIfLj2EEiiiiS1_IjLj3EES5_S5_S5_
	.p2align	8
	.type	_ZL33flash_attn_stream_k_fixup_generalILi128ELi1ELi16EEvPfPK15HIP_vector_typeIfLj2EEiiiiS1_IjLj3EES5_S5_S5_,@function
_ZL33flash_attn_stream_k_fixup_generalILi128ELi1ELi16EEvPfPK15HIP_vector_typeIfLj2EEiiiiS1_IjLj3EES5_S5_S5_: ; @_ZL33flash_attn_stream_k_fixup_generalILi128ELi1ELi16EEvPfPK15HIP_vector_typeIfLj2EEiiiiS1_IjLj3EES5_S5_S5_
; %bb.0:
	s_clause 0x1
	s_load_dwordx4 s[0:3], s[4:5], 0x10
	s_load_dword s9, s[4:5], 0x50
	s_mov_b32 s16, 0
	s_waitcnt lgkmcnt(0)
	s_mul_hi_i32 s17, s3, s6
	s_mul_i32 s18, s3, s6
	s_cmp_lg_u64 s[16:17], 0
	s_cbranch_scc0 .LBB8_21
; %bb.1:
	s_add_u32 s10, s9, 0
	s_addc_u32 s11, 0, 0
	s_xor_b64 s[10:11], s[10:11], 0
	v_cvt_f32_u32_e32 v1, s10
	v_cvt_f32_u32_e32 v2, s11
	s_sub_u32 s14, 0, s10
	s_subb_u32 s15, 0, s11
	v_fmamk_f32 v1, v2, 0x4f800000, v1
	v_rcp_f32_e32 v1, v1
	v_mul_f32_e32 v1, 0x5f7ffffc, v1
	v_mul_f32_e32 v2, 0x2f800000, v1
	v_trunc_f32_e32 v2, v2
	v_fmamk_f32 v1, v2, 0xcf800000, v1
	v_cvt_u32_f32_e32 v2, v2
	v_cvt_u32_f32_e32 v1, v1
	v_readfirstlane_b32 s12, v2
	v_readfirstlane_b32 s13, v1
	s_mul_i32 s19, s14, s12
	s_mul_hi_u32 s21, s14, s13
	s_mul_i32 s20, s15, s13
	s_add_i32 s19, s21, s19
	s_mul_i32 s22, s14, s13
	s_add_i32 s19, s19, s20
	s_mul_hi_u32 s21, s13, s22
	s_mul_i32 s24, s13, s19
	s_mul_hi_u32 s23, s12, s22
	s_mul_i32 s20, s12, s22
	s_mul_hi_u32 s22, s13, s19
	s_add_u32 s21, s21, s24
	s_addc_u32 s22, 0, s22
	s_mul_hi_u32 s25, s12, s19
	s_add_u32 s20, s21, s20
	s_mul_i32 s19, s12, s19
	s_addc_u32 s20, s22, s23
	s_addc_u32 s21, s25, 0
	s_add_u32 s19, s20, s19
	s_addc_u32 s20, 0, s21
	s_add_u32 s13, s13, s19
	s_cselect_b32 s19, -1, 0
	s_mul_hi_u32 s21, s14, s13
	s_cmp_lg_u32 s19, 0
	s_mul_i32 s19, s14, s13
	s_addc_u32 s12, s12, s20
	s_mul_i32 s15, s15, s13
	s_mul_i32 s14, s14, s12
	s_mul_hi_u32 s20, s13, s19
	s_add_i32 s14, s21, s14
	s_mul_hi_u32 s21, s12, s19
	s_add_i32 s14, s14, s15
	s_mul_i32 s15, s12, s19
	s_mul_i32 s23, s13, s14
	s_mul_hi_u32 s22, s13, s14
	s_add_u32 s20, s20, s23
	s_addc_u32 s22, 0, s22
	s_mul_hi_u32 s19, s12, s14
	s_add_u32 s15, s20, s15
	s_mul_i32 s14, s12, s14
	s_addc_u32 s15, s22, s21
	s_addc_u32 s19, s19, 0
	s_add_u32 s14, s15, s14
	s_addc_u32 s15, 0, s19
	s_add_u32 s19, s13, s14
	s_cselect_b32 s13, -1, 0
	s_cmp_lg_u32 s13, 0
	s_addc_u32 s20, s12, s15
	s_ashr_i32 s12, s17, 31
	s_add_u32 s14, s18, s12
	s_mov_b32 s13, s12
	s_addc_u32 s15, s17, s12
	s_xor_b64 s[14:15], s[14:15], s[12:13]
	s_mul_i32 s21, s14, s20
	s_mul_hi_u32 s22, s14, s19
	s_mul_hi_u32 s17, s14, s20
	;; [unrolled: 1-line block ×3, first 2 shown]
	s_mul_i32 s19, s15, s19
	s_add_u32 s21, s22, s21
	s_addc_u32 s17, 0, s17
	s_mul_hi_u32 s23, s15, s20
	s_add_u32 s19, s21, s19
	s_mul_i32 s20, s15, s20
	s_addc_u32 s17, s17, s24
	s_addc_u32 s19, s23, 0
	s_add_u32 s17, s17, s20
	s_addc_u32 s19, 0, s19
	s_mul_hi_u32 s20, s10, s17
	s_mul_i32 s21, s10, s19
	s_mul_i32 s22, s11, s17
	s_add_i32 s20, s20, s21
	s_mul_i32 s21, s10, s17
	s_add_i32 s20, s20, s22
	s_sub_i32 s22, s15, s20
	s_sub_u32 s14, s14, s21
	s_cselect_b32 s21, -1, 0
	s_cmp_lg_u32 s21, 0
	s_subb_u32 s22, s22, s11
	s_sub_u32 s23, s14, s10
	s_cselect_b32 s24, -1, 0
	s_cmp_lg_u32 s24, 0
	s_subb_u32 s22, s22, 0
	s_cmp_ge_u32 s22, s11
	s_cselect_b32 s24, -1, 0
	s_cmp_ge_u32 s23, s10
	s_cselect_b32 s23, -1, 0
	s_cmp_eq_u32 s22, s11
	s_cselect_b32 s22, s23, s24
	s_add_u32 s23, s17, 1
	s_addc_u32 s24, s19, 0
	s_add_u32 s25, s17, 2
	s_addc_u32 s26, s19, 0
	s_cmp_lg_u32 s22, 0
	s_cselect_b32 s22, s25, s23
	s_cselect_b32 s23, s26, s24
	s_cmp_lg_u32 s21, 0
	s_subb_u32 s15, s15, s20
	s_cmp_ge_u32 s15, s11
	s_cselect_b32 s20, -1, 0
	s_cmp_ge_u32 s14, s10
	s_cselect_b32 s10, -1, 0
	s_cmp_eq_u32 s15, s11
	s_cselect_b32 s10, s10, s20
	s_cmp_lg_u32 s10, 0
	s_cselect_b32 s11, s23, s19
	s_cselect_b32 s10, s22, s17
	s_xor_b64 s[12:13], s[12:13], 0
	s_xor_b64 s[10:11], s[10:11], s[12:13]
	s_sub_u32 s10, s10, s12
	s_load_dwordx4 s[12:15], s[4:5], 0x44
	s_andn2_b32 vcc_lo, exec_lo, s16
	s_cbranch_vccnz .LBB8_3
.LBB8_2:
	v_cvt_f32_u32_e32 v1, s9
	s_sub_i32 s11, 0, s9
	v_rcp_iflag_f32_e32 v1, v1
	v_mul_f32_e32 v1, 0x4f7ffffe, v1
	v_cvt_u32_f32_e32 v1, v1
	v_readfirstlane_b32 s10, v1
	s_mul_i32 s11, s11, s10
	s_mul_hi_u32 s11, s10, s11
	s_add_i32 s10, s10, s11
	s_mul_hi_u32 s10, s18, s10
	s_mul_i32 s11, s10, s9
	s_waitcnt lgkmcnt(0)
	s_add_i32 s15, s10, 1
	s_sub_i32 s11, s18, s11
	s_sub_i32 s16, s11, s9
	s_cmp_ge_u32 s11, s9
	s_cselect_b32 s10, s15, s10
	s_cselect_b32 s11, s16, s11
	s_add_i32 s15, s10, 1
	s_cmp_ge_u32 s11, s9
	s_cselect_b32 s10, s15, s10
.LBB8_3:
	s_add_i32 s11, s6, 1
	s_mov_b32 s16, 0
	s_mul_hi_i32 s17, s3, s11
	s_mul_i32 s11, s3, s11
	s_cmp_lg_u64 s[16:17], 0
	s_cbranch_scc0 .LBB8_22
; %bb.4:
	s_add_u32 s18, s9, 0
	s_addc_u32 s19, 0, 0
	s_xor_b64 s[18:19], s[18:19], 0
	v_cvt_f32_u32_e32 v1, s18
	v_cvt_f32_u32_e32 v2, s19
	s_sub_u32 s21, 0, s18
	s_subb_u32 s22, 0, s19
	v_fmamk_f32 v1, v2, 0x4f800000, v1
	v_rcp_f32_e32 v1, v1
	v_mul_f32_e32 v1, 0x5f7ffffc, v1
	v_mul_f32_e32 v2, 0x2f800000, v1
	v_trunc_f32_e32 v2, v2
	v_fmamk_f32 v1, v2, 0xcf800000, v1
	v_cvt_u32_f32_e32 v2, v2
	v_cvt_u32_f32_e32 v1, v1
	s_waitcnt lgkmcnt(0)
	v_readfirstlane_b32 s15, v2
	v_readfirstlane_b32 s20, v1
	s_mul_i32 s23, s21, s15
	s_mul_hi_u32 s25, s21, s20
	s_mul_i32 s24, s22, s20
	s_add_i32 s23, s25, s23
	s_mul_i32 s26, s21, s20
	s_add_i32 s23, s23, s24
	s_mul_hi_u32 s25, s20, s26
	s_mul_i32 s28, s20, s23
	s_mul_hi_u32 s27, s15, s26
	s_mul_i32 s24, s15, s26
	s_mul_hi_u32 s26, s20, s23
	s_add_u32 s25, s25, s28
	s_addc_u32 s26, 0, s26
	s_mul_hi_u32 s29, s15, s23
	s_add_u32 s24, s25, s24
	s_mul_i32 s23, s15, s23
	s_addc_u32 s24, s26, s27
	s_addc_u32 s25, s29, 0
	s_add_u32 s23, s24, s23
	s_addc_u32 s24, 0, s25
	s_add_u32 s20, s20, s23
	s_cselect_b32 s23, -1, 0
	s_mul_hi_u32 s25, s21, s20
	s_cmp_lg_u32 s23, 0
	s_mul_i32 s23, s21, s20
	s_addc_u32 s15, s15, s24
	s_mul_i32 s22, s22, s20
	s_mul_i32 s21, s21, s15
	s_mul_hi_u32 s24, s20, s23
	s_add_i32 s21, s25, s21
	s_mul_hi_u32 s25, s15, s23
	s_add_i32 s21, s21, s22
	s_mul_i32 s22, s15, s23
	s_mul_i32 s27, s20, s21
	s_mul_hi_u32 s26, s20, s21
	s_add_u32 s24, s24, s27
	s_addc_u32 s26, 0, s26
	s_mul_hi_u32 s23, s15, s21
	s_add_u32 s22, s24, s22
	s_mul_i32 s21, s15, s21
	s_addc_u32 s22, s26, s25
	s_addc_u32 s23, s23, 0
	s_add_u32 s21, s22, s21
	s_addc_u32 s22, 0, s23
	s_add_u32 s24, s20, s21
	s_cselect_b32 s20, -1, 0
	s_cmp_lg_u32 s20, 0
	s_addc_u32 s15, s15, s22
	s_ashr_i32 s20, s17, 31
	s_add_u32 s22, s11, s20
	s_mov_b32 s21, s20
	s_addc_u32 s23, s17, s20
	s_xor_b64 s[22:23], s[22:23], s[20:21]
	s_mul_i32 s25, s22, s15
	s_mul_hi_u32 s26, s22, s24
	s_mul_hi_u32 s17, s22, s15
	;; [unrolled: 1-line block ×3, first 2 shown]
	s_mul_i32 s24, s23, s24
	s_add_u32 s25, s26, s25
	s_addc_u32 s17, 0, s17
	s_mul_hi_u32 s27, s23, s15
	s_add_u32 s24, s25, s24
	s_mul_i32 s15, s23, s15
	s_addc_u32 s17, s17, s28
	s_addc_u32 s24, s27, 0
	s_add_u32 s15, s17, s15
	s_addc_u32 s17, 0, s24
	s_mul_hi_u32 s24, s18, s15
	s_mul_i32 s25, s18, s17
	s_mul_i32 s26, s19, s15
	s_add_i32 s24, s24, s25
	s_mul_i32 s25, s18, s15
	s_add_i32 s24, s24, s26
	s_sub_i32 s26, s23, s24
	s_sub_u32 s22, s22, s25
	s_cselect_b32 s25, -1, 0
	s_cmp_lg_u32 s25, 0
	s_subb_u32 s26, s26, s19
	s_sub_u32 s27, s22, s18
	s_cselect_b32 s28, -1, 0
	s_cmp_lg_u32 s28, 0
	s_subb_u32 s26, s26, 0
	s_cmp_ge_u32 s26, s19
	s_cselect_b32 s28, -1, 0
	s_cmp_ge_u32 s27, s18
	s_cselect_b32 s27, -1, 0
	s_cmp_eq_u32 s26, s19
	s_cselect_b32 s26, s27, s28
	s_add_u32 s27, s15, 1
	s_addc_u32 s28, s17, 0
	s_add_u32 s29, s15, 2
	s_addc_u32 s30, s17, 0
	s_cmp_lg_u32 s26, 0
	s_cselect_b32 s26, s29, s27
	s_cselect_b32 s27, s30, s28
	s_cmp_lg_u32 s25, 0
	s_subb_u32 s23, s23, s24
	s_cmp_ge_u32 s23, s19
	s_cselect_b32 s24, -1, 0
	s_cmp_ge_u32 s22, s18
	s_cselect_b32 s18, -1, 0
	s_cmp_eq_u32 s23, s19
	s_cselect_b32 s18, s18, s24
	s_cmp_lg_u32 s18, 0
	s_cselect_b32 s19, s27, s17
	s_cselect_b32 s18, s26, s15
	s_xor_b64 s[20:21], s[20:21], 0
	s_xor_b64 s[18:19], s[18:19], s[20:21]
	s_sub_u32 s18, s18, s20
	s_andn2_b32 vcc_lo, exec_lo, s16
	s_cbranch_vccnz .LBB8_6
.LBB8_5:
	v_cvt_f32_u32_e32 v1, s9
	s_sub_i32 s16, 0, s9
	v_rcp_iflag_f32_e32 v1, v1
	v_mul_f32_e32 v1, 0x4f7ffffe, v1
	v_cvt_u32_f32_e32 v1, v1
	s_waitcnt lgkmcnt(0)
	v_readfirstlane_b32 s15, v1
	s_mul_i32 s16, s16, s15
	s_mul_hi_u32 s16, s15, s16
	s_add_i32 s15, s15, s16
	s_mul_hi_u32 s15, s11, s15
	s_mul_i32 s16, s15, s9
	s_sub_i32 s11, s11, s16
	s_add_i32 s16, s15, 1
	s_sub_i32 s17, s11, s9
	s_cmp_ge_u32 s11, s9
	s_cselect_b32 s15, s16, s15
	s_cselect_b32 s11, s17, s11
	s_add_i32 s16, s15, 1
	s_cmp_ge_u32 s11, s9
	s_cselect_b32 s18, s16, s15
.LBB8_6:
	s_cmp_eq_u32 s10, s18
	s_waitcnt lgkmcnt(0)
	s_mul_hi_u32 s11, s10, s12
	s_cselect_b32 s15, -1, 0
	s_add_i32 s11, s11, s10
	s_lshr_b32 s11, s11, s13
	s_mul_i32 s16, s11, s14
	s_cmp_eq_u32 s16, s10
	s_mul_hi_u32 s16, s18, s12
	s_cselect_b32 s17, -1, 0
	s_add_i32 s16, s16, s18
	s_lshr_b32 s16, s16, s13
	s_cmp_eq_u32 s11, s16
	s_mul_i32 s16, s16, s14
	s_cselect_b32 s19, -1, 0
	s_cmp_lg_u32 s16, s18
	s_cselect_b32 s16, -1, 0
	s_or_b32 s15, s15, s17
	s_and_b32 s16, s19, s16
	s_or_b32 s15, s15, s16
	s_and_b32 vcc_lo, exec_lo, s15
	s_cbranch_vccnz .LBB8_24
; %bb.7:
	s_load_dwordx8 s[16:23], s[4:5], 0x20
	s_waitcnt lgkmcnt(0)
	s_mul_hi_u32 s15, s10, s16
	s_load_dword s16, s[4:5], 0x40
	s_add_i32 s15, s15, s10
	s_lshr_b32 s15, s15, s17
	s_mul_i32 s17, s15, s18
	s_sub_i32 s17, s10, s17
	s_mul_hi_u32 s18, s17, s19
	s_add_i32 s18, s17, s18
	s_lshr_b32 s20, s18, s20
	s_mul_i32 s18, s20, s21
	s_sub_i32 s17, s17, s18
	s_mul_hi_u32 s18, s17, s22
	s_add_i32 s18, s17, s18
	s_lshr_b32 s18, s18, s23
	s_waitcnt lgkmcnt(0)
	s_mul_i32 s16, s18, s16
	s_lshl_b32 s22, s18, 4
	s_sub_i32 s16, s17, s16
	s_mul_hi_u32 s17, s16, s12
	s_add_i32 s16, s16, s17
	s_lshr_b32 s21, s16, s13
	s_add_i32 s21, s21, s7
	s_cmp_lt_i32 s21, s0
	s_cselect_b32 s16, -1, 0
	s_add_i32 s22, s22, s8
	s_cmp_lt_i32 s22, s2
	s_cselect_b32 s17, -1, 0
	s_and_b32 s16, s16, s17
	s_andn2_b32 vcc_lo, exec_lo, s16
	s_cbranch_vccnz .LBB8_24
; %bb.8:
	s_load_dwordx4 s[16:19], s[4:5], 0x0
	s_mov_b32 s4, 0
	s_lshl_b32 s24, s9, 6
	s_mov_b32 s25, s4
	s_mul_i32 s0, s15, s0
	s_lshl_b64 s[24:25], s[24:25], 2
	s_mul_i32 s20, s20, s2
	v_cvt_f32_u32_e32 v4, s9
	v_rcp_iflag_f32_e32 v4, v4
	s_waitcnt lgkmcnt(0)
	s_add_u32 s2, s18, s24
	s_addc_u32 s15, s19, s25
	s_add_i32 s0, s21, s0
	s_add_i32 s5, s22, s20
	s_mul_i32 s0, s0, s1
	v_mul_f32_e32 v4, 0x4f7ffffe, v4
	s_add_i32 s5, s5, s0
	s_add_i32 s0, s7, s6
	v_lshl_or_b32 v1, s5, 7, v0
	s_lshl_b32 s0, s0, 4
	v_lshl_or_b32 v0, s8, 7, v0
	s_add_i32 s0, s0, s8
	v_cvt_u32_f32_e32 v4, v4
	v_ashrrev_i32_e32 v2, 31, v1
	s_ashr_i32 s1, s0, 31
	s_lshl_b64 s[0:1], s[0:1], 3
	v_lshlrev_b64 v[1:2], 2, v[1:2]
	s_add_u32 s0, s18, s0
	s_addc_u32 s1, s19, s1
	s_add_i32 s20, s6, -1
	s_load_dwordx2 s[0:1], s[0:1], 0x0
	s_sub_i32 s6, 0, s9
	v_add_co_u32 v1, vcc_lo, s16, v1
	v_add_co_ci_u32_e64 v2, null, s17, v2, vcc_lo
	global_load_dword v3, v[1:2], off
	s_waitcnt lgkmcnt(0)
	v_mov_b32_e32 v5, s1
	v_mov_b32_e32 v6, s0
.LBB8_9:                                ; =>This Inner Loop Header: Depth=1
	s_mul_hi_i32 s5, s20, s3
	s_mul_i32 s16, s20, s3
	s_cmp_lg_u64 s[4:5], 0
	s_mov_b32 s17, -1
                                        ; implicit-def: $sgpr0_sgpr1
	s_cbranch_scc0 .LBB8_11
; %bb.10:                               ;   in Loop: Header=BB8_9 Depth=1
	s_add_u32 s0, s9, 0
	s_addc_u32 s1, 0, 0
	s_xor_b64 s[0:1], s[0:1], 0
	v_cvt_f32_u32_e32 v7, s0
	v_cvt_f32_u32_e32 v8, s1
	s_sub_u32 s22, 0, s0
	s_subb_u32 s23, 0, s1
	v_fmac_f32_e32 v7, 0x4f800000, v8
	v_rcp_f32_e32 v7, v7
	v_mul_f32_e32 v7, 0x5f7ffffc, v7
	v_mul_f32_e32 v8, 0x2f800000, v7
	v_trunc_f32_e32 v8, v8
	v_fmac_f32_e32 v7, 0xcf800000, v8
	v_cvt_u32_f32_e32 v8, v8
	v_cvt_u32_f32_e32 v7, v7
	v_readfirstlane_b32 s17, v8
	v_readfirstlane_b32 s21, v7
	s_mul_i32 s24, s22, s17
	s_mul_hi_u32 s26, s22, s21
	s_mul_i32 s25, s23, s21
	s_add_i32 s24, s26, s24
	s_mul_i32 s27, s22, s21
	s_add_i32 s24, s24, s25
	s_mul_hi_u32 s26, s21, s27
	s_mul_i32 s29, s21, s24
	s_mul_hi_u32 s28, s17, s27
	s_mul_i32 s25, s17, s27
	s_mul_hi_u32 s27, s21, s24
	s_add_u32 s26, s26, s29
	s_addc_u32 s27, 0, s27
	s_mul_hi_u32 s30, s17, s24
	s_add_u32 s25, s26, s25
	s_mul_i32 s24, s17, s24
	s_addc_u32 s25, s27, s28
	s_addc_u32 s26, s30, 0
	s_add_u32 s24, s25, s24
	s_addc_u32 s25, 0, s26
	s_add_u32 s21, s21, s24
	s_cselect_b32 s24, -1, 0
	s_mul_hi_u32 s26, s22, s21
	s_cmp_lg_u32 s24, 0
	s_mul_i32 s24, s22, s21
	s_addc_u32 s17, s17, s25
	s_mul_i32 s23, s23, s21
	s_mul_i32 s22, s22, s17
	s_mul_hi_u32 s25, s21, s24
	s_add_i32 s22, s26, s22
	s_mul_hi_u32 s26, s17, s24
	s_add_i32 s22, s22, s23
	s_mul_i32 s23, s17, s24
	s_mul_i32 s28, s21, s22
	s_mul_hi_u32 s27, s21, s22
	s_add_u32 s25, s25, s28
	s_addc_u32 s27, 0, s27
	s_mul_hi_u32 s24, s17, s22
	s_add_u32 s23, s25, s23
	s_mul_i32 s22, s17, s22
	s_addc_u32 s23, s27, s26
	s_addc_u32 s24, s24, 0
	s_add_u32 s22, s23, s22
	s_addc_u32 s23, 0, s24
	s_add_u32 s21, s21, s22
	s_cselect_b32 s22, -1, 0
	s_cmp_lg_u32 s22, 0
	s_addc_u32 s17, s17, s23
	s_ashr_i32 s22, s5, 31
	s_add_u32 s24, s16, s22
	s_mov_b32 s23, s22
	s_addc_u32 s25, s5, s22
	s_xor_b64 s[24:25], s[24:25], s[22:23]
	s_mul_i32 s26, s24, s17
	s_mul_hi_u32 s27, s24, s21
	s_mul_hi_u32 s5, s24, s17
	;; [unrolled: 1-line block ×3, first 2 shown]
	s_mul_i32 s21, s25, s21
	s_add_u32 s26, s27, s26
	s_addc_u32 s5, 0, s5
	s_mul_hi_u32 s28, s25, s17
	s_add_u32 s21, s26, s21
	s_mul_i32 s17, s25, s17
	s_addc_u32 s5, s5, s29
	s_addc_u32 s21, s28, 0
	s_add_u32 s5, s5, s17
	s_addc_u32 s17, 0, s21
	s_mul_hi_u32 s21, s0, s5
	s_mul_i32 s26, s0, s17
	s_mul_i32 s27, s1, s5
	s_add_i32 s21, s21, s26
	s_mul_i32 s26, s0, s5
	s_add_i32 s21, s21, s27
	s_sub_i32 s27, s25, s21
	s_sub_u32 s24, s24, s26
	s_cselect_b32 s26, -1, 0
	s_cmp_lg_u32 s26, 0
	s_subb_u32 s27, s27, s1
	s_sub_u32 s28, s24, s0
	s_cselect_b32 s29, -1, 0
	s_cmp_lg_u32 s29, 0
	s_subb_u32 s27, s27, 0
	s_cmp_ge_u32 s27, s1
	s_cselect_b32 s29, -1, 0
	s_cmp_ge_u32 s28, s0
	s_cselect_b32 s28, -1, 0
	s_cmp_eq_u32 s27, s1
	s_cselect_b32 s27, s28, s29
	s_add_u32 s28, s5, 1
	s_addc_u32 s29, s17, 0
	s_add_u32 s30, s5, 2
	s_addc_u32 s31, s17, 0
	s_cmp_lg_u32 s27, 0
	s_cselect_b32 s27, s30, s28
	s_cselect_b32 s28, s31, s29
	s_cmp_lg_u32 s26, 0
	s_subb_u32 s21, s25, s21
	s_cmp_ge_u32 s21, s1
	s_cselect_b32 s25, -1, 0
	s_cmp_ge_u32 s24, s0
	s_cselect_b32 s0, -1, 0
	s_cmp_eq_u32 s21, s1
	s_cselect_b32 s0, s0, s25
	s_cmp_lg_u32 s0, 0
	s_cselect_b32 s1, s28, s17
	s_cselect_b32 s0, s27, s5
	s_xor_b64 s[22:23], s[22:23], 0
	s_mov_b32 s17, 0
	s_xor_b64 s[0:1], s[0:1], s[22:23]
	s_sub_u32 s0, s0, s22
.LBB8_11:                               ;   in Loop: Header=BB8_9 Depth=1
	s_andn2_b32 vcc_lo, exec_lo, s17
	s_cbranch_vccnz .LBB8_13
; %bb.12:                               ;   in Loop: Header=BB8_9 Depth=1
	v_readfirstlane_b32 s0, v4
	s_mul_i32 s1, s6, s0
	s_mul_hi_u32 s1, s0, s1
	s_add_i32 s0, s0, s1
	s_mul_hi_u32 s0, s16, s0
	s_mul_i32 s1, s0, s9
	s_add_i32 s5, s0, 1
	s_sub_i32 s1, s16, s1
	s_sub_i32 s16, s1, s9
	s_cmp_ge_u32 s1, s9
	s_cselect_b32 s0, s5, s0
	s_cselect_b32 s1, s16, s1
	s_add_i32 s5, s0, 1
	s_cmp_ge_u32 s1, s9
	s_cselect_b32 s0, s5, s0
.LBB8_13:                               ;   in Loop: Header=BB8_9 Depth=1
	s_cmp_lg_u32 s10, s0
	s_mov_b32 s16, -1
                                        ; implicit-def: $sgpr5
                                        ; implicit-def: $vgpr8
                                        ; implicit-def: $vgpr7
                                        ; implicit-def: $vgpr9
                                        ; implicit-def: $sgpr1
                                        ; implicit-def: $sgpr21
	s_cbranch_scc0 .LBB8_18
; %bb.14:                               ;   in Loop: Header=BB8_9 Depth=1
	s_add_i32 s22, s20, s7
	s_mov_b32 s17, s4
	s_add_i32 s1, s22, s9
	s_mov_b32 s21, s10
	s_lshl_b32 s1, s1, 4
	s_add_i32 s16, s1, s8
	s_mul_hi_u32 s1, s0, s12
	s_lshl_b64 s[16:17], s[16:17], 3
	s_add_u32 s16, s18, s16
	s_addc_u32 s17, s19, s17
	s_add_i32 s1, s1, s0
	s_lshr_b32 s1, s1, s13
	s_mul_i32 s5, s1, s14
	s_cmp_eq_u32 s5, s0
	s_cselect_b32 s5, -1, 0
	s_cmp_lt_u32 s1, s11
	s_cselect_b32 s1, -1, 0
	s_or_b32 s1, s1, s5
	s_mov_b32 s5, -1
	s_and_b32 vcc_lo, exec_lo, s1
	s_mov_b32 s1, s20
	s_cbranch_vccnz .LBB8_16
; %bb.15:                               ;   in Loop: Header=BB8_9 Depth=1
	s_add_i32 s1, s20, -1
	s_mov_b32 s5, 0
	s_mov_b32 s21, s0
.LBB8_16:                               ;   in Loop: Header=BB8_9 Depth=1
	v_lshl_add_u32 v7, s22, 11, v0
	s_load_dwordx2 s[16:17], s[16:17], 0x0
	v_ashrrev_i32_e32 v8, 31, v7
	v_lshlrev_b64 v[7:8], 2, v[7:8]
	v_add_co_u32 v7, vcc_lo, s2, v7
	v_add_co_ci_u32_e64 v8, null, s15, v8, vcc_lo
	s_waitcnt lgkmcnt(0)
	v_max_f32_e64 v9, s16, s16
	global_load_dword v8, v[7:8], off
	v_max_f32_e32 v7, v6, v6
	v_max_f32_e32 v7, v7, v9
	v_sub_f32_e32 v9, s16, v7
	v_sub_f32_e32 v10, v6, v7
	v_mul_f32_e32 v11, 0x3fb8aa3b, v9
	v_mul_f32_e32 v12, 0x3fb8aa3b, v10
	v_cmp_ngt_f32_e32 vcc_lo, 0xc2ce8ed0, v9
	v_fma_f32 v13, 0x3fb8aa3b, v9, -v11
	v_rndne_f32_e32 v14, v11
	v_fma_f32 v15, 0x3fb8aa3b, v10, -v12
	v_rndne_f32_e32 v16, v12
	v_fmac_f32_e32 v13, 0x32a5705f, v9
	v_sub_f32_e32 v11, v11, v14
	v_fmac_f32_e32 v15, 0x32a5705f, v10
	v_sub_f32_e32 v12, v12, v16
	v_add_f32_e32 v11, v11, v13
	v_cvt_i32_f32_e32 v13, v14
	v_add_f32_e32 v12, v12, v15
	v_cvt_i32_f32_e32 v14, v16
	v_exp_f32_e32 v11, v11
	v_exp_f32_e32 v12, v12
	v_ldexp_f32 v11, v11, v13
	v_ldexp_f32 v12, v12, v14
	v_cndmask_b32_e32 v11, 0, v11, vcc_lo
	v_cmp_ngt_f32_e32 vcc_lo, 0xc2ce8ed0, v10
	v_cndmask_b32_e32 v12, 0, v12, vcc_lo
	v_cmp_nlt_f32_e32 vcc_lo, 0x42b17218, v9
	v_cndmask_b32_e32 v11, 0x7f800000, v11, vcc_lo
	v_cmp_nlt_f32_e32 vcc_lo, 0x42b17218, v10
	v_cndmask_b32_e32 v12, 0x7f800000, v12, vcc_lo
	v_cmp_le_f32_e32 vcc_lo, 0xc1a00000, v9
	v_cndmask_b32_e32 v9, 0, v11, vcc_lo
	v_cmp_le_f32_e32 vcc_lo, 0xc1a00000, v10
	v_cndmask_b32_e32 v10, 0, v12, vcc_lo
	s_waitcnt vmcnt(0)
	v_mul_f32_e32 v8, v8, v9
	v_mul_f32_e32 v9, s17, v9
	v_fmac_f32_e32 v8, v3, v10
	v_fmac_f32_e32 v9, v5, v10
	s_cbranch_execz .LBB8_19
.LBB8_17:                               ;   in Loop: Header=BB8_9 Depth=1
	s_andn2_b32 vcc_lo, exec_lo, s5
	s_cbranch_vccnz .LBB8_20
	s_branch .LBB8_23
.LBB8_18:                               ;   in Loop: Header=BB8_9 Depth=1
	s_andn2_b32 vcc_lo, exec_lo, s16
	s_cbranch_vccnz .LBB8_17
.LBB8_19:                               ;   in Loop: Header=BB8_9 Depth=1
	v_mov_b32_e32 v9, v5
	v_mov_b32_e32 v7, v6
	s_waitcnt vmcnt(0)
	v_mov_b32_e32 v8, v3
	s_add_i32 s1, s20, -1
	s_mov_b32 s21, s10
	s_cbranch_execz .LBB8_23
.LBB8_20:                               ;   in Loop: Header=BB8_9 Depth=1
	v_mov_b32_e32 v5, v9
	v_mov_b32_e32 v6, v7
	s_waitcnt vmcnt(0)
	v_mov_b32_e32 v3, v8
	s_mov_b32 s10, s21
	s_mov_b32 s20, s1
	s_branch .LBB8_9
.LBB8_21:
                                        ; implicit-def: $sgpr10_sgpr11
	s_load_dwordx4 s[12:15], s[4:5], 0x44
	s_branch .LBB8_2
.LBB8_22:
                                        ; implicit-def: $sgpr18_sgpr19
	s_branch .LBB8_5
.LBB8_23:
	v_div_scale_f32 v0, null, v9, v9, v8
	s_waitcnt vmcnt(0)
	v_rcp_f32_e32 v3, v0
	v_fma_f32 v4, -v0, v3, 1.0
	v_fmac_f32_e32 v3, v4, v3
	v_div_scale_f32 v4, vcc_lo, v8, v9, v8
	v_mul_f32_e32 v5, v4, v3
	v_fma_f32 v6, -v0, v5, v4
	v_fmac_f32_e32 v5, v6, v3
	v_fma_f32 v0, -v0, v5, v4
	v_div_fmas_f32 v0, v0, v3, v5
	v_div_fixup_f32 v0, v0, v9, v8
	global_store_dword v[1:2], v0, off
.LBB8_24:
	s_endpgm
	.section	.rodata,"a",@progbits
	.p2align	6, 0x0
	.amdhsa_kernel _ZL33flash_attn_stream_k_fixup_generalILi128ELi1ELi16EEvPfPK15HIP_vector_typeIfLj2EEiiiiS1_IjLj3EES5_S5_S5_
		.amdhsa_group_segment_fixed_size 0
		.amdhsa_private_segment_fixed_size 0
		.amdhsa_kernarg_size 336
		.amdhsa_user_sgpr_count 6
		.amdhsa_user_sgpr_private_segment_buffer 1
		.amdhsa_user_sgpr_dispatch_ptr 0
		.amdhsa_user_sgpr_queue_ptr 0
		.amdhsa_user_sgpr_kernarg_segment_ptr 1
		.amdhsa_user_sgpr_dispatch_id 0
		.amdhsa_user_sgpr_flat_scratch_init 0
		.amdhsa_user_sgpr_private_segment_size 0
		.amdhsa_wavefront_size32 1
		.amdhsa_uses_dynamic_stack 0
		.amdhsa_system_sgpr_private_segment_wavefront_offset 0
		.amdhsa_system_sgpr_workgroup_id_x 1
		.amdhsa_system_sgpr_workgroup_id_y 1
		.amdhsa_system_sgpr_workgroup_id_z 1
		.amdhsa_system_sgpr_workgroup_info 0
		.amdhsa_system_vgpr_workitem_id 0
		.amdhsa_next_free_vgpr 17
		.amdhsa_next_free_sgpr 32
		.amdhsa_reserve_vcc 1
		.amdhsa_reserve_flat_scratch 0
		.amdhsa_float_round_mode_32 0
		.amdhsa_float_round_mode_16_64 0
		.amdhsa_float_denorm_mode_32 3
		.amdhsa_float_denorm_mode_16_64 3
		.amdhsa_dx10_clamp 1
		.amdhsa_ieee_mode 1
		.amdhsa_fp16_overflow 0
		.amdhsa_workgroup_processor_mode 1
		.amdhsa_memory_ordered 1
		.amdhsa_forward_progress 1
		.amdhsa_shared_vgpr_count 0
		.amdhsa_exception_fp_ieee_invalid_op 0
		.amdhsa_exception_fp_denorm_src 0
		.amdhsa_exception_fp_ieee_div_zero 0
		.amdhsa_exception_fp_ieee_overflow 0
		.amdhsa_exception_fp_ieee_underflow 0
		.amdhsa_exception_fp_ieee_inexact 0
		.amdhsa_exception_int_div_zero 0
	.end_amdhsa_kernel
	.section	.text._ZL33flash_attn_stream_k_fixup_generalILi128ELi1ELi16EEvPfPK15HIP_vector_typeIfLj2EEiiiiS1_IjLj3EES5_S5_S5_,"axG",@progbits,_ZL33flash_attn_stream_k_fixup_generalILi128ELi1ELi16EEvPfPK15HIP_vector_typeIfLj2EEiiiiS1_IjLj3EES5_S5_S5_,comdat
.Lfunc_end8:
	.size	_ZL33flash_attn_stream_k_fixup_generalILi128ELi1ELi16EEvPfPK15HIP_vector_typeIfLj2EEiiiiS1_IjLj3EES5_S5_S5_, .Lfunc_end8-_ZL33flash_attn_stream_k_fixup_generalILi128ELi1ELi16EEvPfPK15HIP_vector_typeIfLj2EEiiiiS1_IjLj3EES5_S5_S5_
                                        ; -- End function
	.set _ZL33flash_attn_stream_k_fixup_generalILi128ELi1ELi16EEvPfPK15HIP_vector_typeIfLj2EEiiiiS1_IjLj3EES5_S5_S5_.num_vgpr, 17
	.set _ZL33flash_attn_stream_k_fixup_generalILi128ELi1ELi16EEvPfPK15HIP_vector_typeIfLj2EEiiiiS1_IjLj3EES5_S5_S5_.num_agpr, 0
	.set _ZL33flash_attn_stream_k_fixup_generalILi128ELi1ELi16EEvPfPK15HIP_vector_typeIfLj2EEiiiiS1_IjLj3EES5_S5_S5_.numbered_sgpr, 32
	.set _ZL33flash_attn_stream_k_fixup_generalILi128ELi1ELi16EEvPfPK15HIP_vector_typeIfLj2EEiiiiS1_IjLj3EES5_S5_S5_.num_named_barrier, 0
	.set _ZL33flash_attn_stream_k_fixup_generalILi128ELi1ELi16EEvPfPK15HIP_vector_typeIfLj2EEiiiiS1_IjLj3EES5_S5_S5_.private_seg_size, 0
	.set _ZL33flash_attn_stream_k_fixup_generalILi128ELi1ELi16EEvPfPK15HIP_vector_typeIfLj2EEiiiiS1_IjLj3EES5_S5_S5_.uses_vcc, 1
	.set _ZL33flash_attn_stream_k_fixup_generalILi128ELi1ELi16EEvPfPK15HIP_vector_typeIfLj2EEiiiiS1_IjLj3EES5_S5_S5_.uses_flat_scratch, 0
	.set _ZL33flash_attn_stream_k_fixup_generalILi128ELi1ELi16EEvPfPK15HIP_vector_typeIfLj2EEiiiiS1_IjLj3EES5_S5_S5_.has_dyn_sized_stack, 0
	.set _ZL33flash_attn_stream_k_fixup_generalILi128ELi1ELi16EEvPfPK15HIP_vector_typeIfLj2EEiiiiS1_IjLj3EES5_S5_S5_.has_recursion, 0
	.set _ZL33flash_attn_stream_k_fixup_generalILi128ELi1ELi16EEvPfPK15HIP_vector_typeIfLj2EEiiiiS1_IjLj3EES5_S5_S5_.has_indirect_call, 0
	.section	.AMDGPU.csdata,"",@progbits
; Kernel info:
; codeLenInByte = 2924
; TotalNumSgprs: 34
; NumVgprs: 17
; ScratchSize: 0
; MemoryBound: 0
; FloatMode: 240
; IeeeMode: 1
; LDSByteSize: 0 bytes/workgroup (compile time only)
; SGPRBlocks: 0
; VGPRBlocks: 2
; NumSGPRsForWavesPerEU: 34
; NumVGPRsForWavesPerEU: 17
; Occupancy: 16
; WaveLimiterHint : 0
; COMPUTE_PGM_RSRC2:SCRATCH_EN: 0
; COMPUTE_PGM_RSRC2:USER_SGPR: 6
; COMPUTE_PGM_RSRC2:TRAP_HANDLER: 0
; COMPUTE_PGM_RSRC2:TGID_X_EN: 1
; COMPUTE_PGM_RSRC2:TGID_Y_EN: 1
; COMPUTE_PGM_RSRC2:TGID_Z_EN: 1
; COMPUTE_PGM_RSRC2:TIDIG_COMP_CNT: 0
	.section	.text._ZL15flash_attn_tileILi192ELi128ELi4ELi8ELb0EEvPKcS1_S1_S1_S1_PKiPfP15HIP_vector_typeIfLj2EEffffjfiS5_IjLj3EEiiiiiiiiiiiliiliiiiil,"axG",@progbits,_ZL15flash_attn_tileILi192ELi128ELi4ELi8ELb0EEvPKcS1_S1_S1_S1_PKiPfP15HIP_vector_typeIfLj2EEffffjfiS5_IjLj3EEiiiiiiiiiiiliiliiiiil,comdat
	.globl	_ZL15flash_attn_tileILi192ELi128ELi4ELi8ELb0EEvPKcS1_S1_S1_S1_PKiPfP15HIP_vector_typeIfLj2EEffffjfiS5_IjLj3EEiiiiiiiiiiiliiliiiiil ; -- Begin function _ZL15flash_attn_tileILi192ELi128ELi4ELi8ELb0EEvPKcS1_S1_S1_S1_PKiPfP15HIP_vector_typeIfLj2EEffffjfiS5_IjLj3EEiiiiiiiiiiiliiliiiiil
	.p2align	8
	.type	_ZL15flash_attn_tileILi192ELi128ELi4ELi8ELb0EEvPKcS1_S1_S1_S1_PKiPfP15HIP_vector_typeIfLj2EEffffjfiS5_IjLj3EEiiiiiiiiiiiliiliiiiil,@function
_ZL15flash_attn_tileILi192ELi128ELi4ELi8ELb0EEvPKcS1_S1_S1_S1_PKiPfP15HIP_vector_typeIfLj2EEffffjfiS5_IjLj3EEiiiiiiiiiiiliiliiiiil: ; @_ZL15flash_attn_tileILi192ELi128ELi4ELi8ELb0EEvPKcS1_S1_S1_S1_PKiPfP15HIP_vector_typeIfLj2EEffffjfiS5_IjLj3EEiiiiiiiiiiiliiliiiiil
; %bb.0:
	s_clause 0x1
	s_load_dwordx4 s[24:27], s[4:5], 0x5c
	s_load_dwordx2 s[30:31], s[4:5], 0x80
	s_mov_b32 s28, s7
	s_mov_b64 s[34:35], 0
	s_waitcnt lgkmcnt(0)
	s_ashr_i32 s0, s27, 31
	s_lshr_b32 s0, s0, 29
	s_add_i32 s0, s27, s0
	s_ashr_i32 s0, s0, 3
	v_cvt_f32_u32_e32 v2, s0
	s_sub_i32 s2, 0, s0
	v_rcp_iflag_f32_e32 v2, v2
	v_mul_f32_e32 v2, 0x4f7ffffe, v2
	v_cvt_u32_f32_e32 v2, v2
	v_readfirstlane_b32 s1, v2
	s_mul_i32 s2, s2, s1
	s_mul_hi_u32 s2, s1, s2
	s_add_i32 s1, s1, s2
	s_mul_hi_u32 s1, s8, s1
	s_mul_i32 s2, s1, s0
	s_add_i32 s3, s1, 1
	s_sub_i32 s2, s8, s2
	s_sub_i32 s7, s2, s0
	s_cmp_ge_u32 s2, s0
	s_cselect_b32 s1, s3, s1
	s_cselect_b32 s2, s7, s2
	s_add_i32 s3, s1, 1
	s_cmp_ge_u32 s2, s0
	s_cselect_b32 s29, s3, s1
	s_abs_i32 s0, s31
	s_lshl_b32 s3, s8, 3
	v_cvt_f32_u32_e32 v2, s0
	s_sub_i32 s2, 0, s0
	s_abs_i32 s8, s27
	s_mul_i32 s7, s29, s27
	v_rcp_iflag_f32_e32 v2, v2
	s_sub_i32 s33, s3, s7
	v_mul_f32_e32 v2, 0x4f7ffffe, v2
	v_cvt_u32_f32_e32 v2, v2
	v_readfirstlane_b32 s1, v2
	s_mul_i32 s2, s2, s1
	s_mul_hi_u32 s2, s1, s2
	s_add_i32 s1, s1, s2
	s_xor_b32 s2, s27, s31
	s_mul_hi_u32 s1, s8, s1
	s_ashr_i32 s2, s2, 31
	s_mul_i32 s3, s1, s0
	s_add_i32 s7, s1, 1
	s_sub_i32 s3, s8, s3
	s_sub_i32 s8, s3, s0
	s_cmp_ge_u32 s3, s0
	s_cselect_b32 s1, s7, s1
	s_cselect_b32 s3, s8, s3
	s_add_i32 s7, s1, 1
	s_cmp_ge_u32 s3, s0
	s_clause 0x1
	s_load_dwordx16 s[8:23], s[4:5], 0x0
	s_load_dwordx2 s[36:37], s[4:5], 0xb8
	s_cselect_b32 s0, s7, s1
	s_xor_b32 s0, s0, s2
	s_sub_i32 s31, s0, s2
	s_abs_i32 s7, s31
	v_cvt_f32_u32_e32 v2, s7
	v_rcp_iflag_f32_e32 v2, v2
	s_waitcnt lgkmcnt(0)
	s_cmp_eq_u64 s[14:15], 0
	v_mul_f32_e32 v2, 0x4f7ffffe, v2
	v_cvt_u32_f32_e32 v2, v2
	v_readfirstlane_b32 s38, v2
	s_cbranch_scc1 .LBB9_2
; %bb.1:
	s_abs_i32 s2, s36
	s_abs_i32 s3, s29
	v_cvt_f32_u32_e32 v2, s2
	s_sub_i32 s1, 0, s2
	v_rcp_iflag_f32_e32 v2, v2
	v_mul_f32_e32 v2, 0x4f7ffffe, v2
	v_cvt_u32_f32_e32 v2, v2
	v_readfirstlane_b32 s0, v2
	s_mul_i32 s1, s1, s0
	s_mul_hi_u32 s1, s0, s1
	s_add_i32 s0, s0, s1
	s_mul_hi_u32 s34, s3, s0
	s_load_dwordx2 s[0:1], s[4:5], 0xc8
	s_mul_i32 s34, s34, s2
	s_sub_i32 s3, s3, s34
	s_ashr_i32 s34, s29, 31
	s_sub_i32 s35, s3, s2
	s_cmp_ge_u32 s3, s2
	s_cselect_b32 s3, s35, s3
	s_sub_i32 s35, s3, s2
	s_cmp_ge_u32 s3, s2
	s_cselect_b32 s2, s35, s3
	s_xor_b32 s2, s2, s34
	s_sub_i32 s2, s2, s34
	s_ashr_i32 s3, s2, 31
	s_waitcnt lgkmcnt(0)
	s_mul_hi_u32 s34, s0, s2
	s_mul_i32 s3, s0, s3
	s_mul_i32 s1, s1, s2
	s_add_i32 s3, s34, s3
	s_mul_i32 s0, s0, s2
	s_add_i32 s3, s3, s1
	s_add_u32 s34, s14, s0
	s_addc_u32 s35, s15, s3
.LBB9_2:
	v_lshrrev_b32_e32 v2, 1, v1
	s_load_dwordx4 s[0:3], s[4:5], 0x70
	v_lshlrev_b32_e32 v6, 2, v1
	v_lshlrev_b32_e32 v9, 4, v0
	v_mul_u32_u24_e32 v29, 0x600, v1
	v_lshl_add_u32 v17, s6, 2, v2
	v_and_b32_e32 v27, 4, v6
	v_mul_hi_u32 v2, s24, v17
	v_add_nc_u32_e32 v2, v17, v2
	s_waitcnt lgkmcnt(0)
	s_mul_i32 s2, s29, s2
	s_mul_i32 s3, s33, s1
	v_lshrrev_b32_e32 v2, s25, v2
	s_ashr_i32 s15, s2, 31
	s_add_u32 s2, s8, s2
	s_addc_u32 s8, s9, s15
	s_ashr_i32 s9, s3, 31
	v_mul_lo_u32 v2, v2, s26
	s_add_u32 s24, s2, s3
	s_mov_b32 s14, s1
	s_addc_u32 s8, s8, s9
	s_ashr_i32 s15, s1, 31
	s_ashr_i32 s1, s0, 31
	v_mul_i32_i24_e32 v5, s15, v27
	s_lshr_b64 s[2:3], s[0:1], 2
	v_sub_nc_u32_e32 v4, v17, v2
	s_lshr_b32 s0, s1, 2
	s_load_dword s1, s[4:5], 0x40
	v_mad_u64_u32 v[2:3], null, s2, v4, 0
	s_lshr_b64 s[2:3], s[14:15], 2
	v_mad_u64_u32 v[7:8], null, s0, v4, v[3:4]
	v_mov_b32_e32 v3, v7
	v_mad_u64_u32 v[7:8], null, s2, v27, 0
	v_lshlrev_b64 v[2:3], 2, v[2:3]
	v_or_b32_e32 v8, v8, v5
	v_add_co_u32 v5, vcc_lo, s24, v2
	v_add_co_ci_u32_e64 v10, null, s8, v3, vcc_lo
	v_lshlrev_b64 v[2:3], 2, v[7:8]
	v_add_co_u32 v7, vcc_lo, v5, v9
	v_add_co_ci_u32_e64 v8, null, 0, v10, vcc_lo
	v_add_co_u32 v2, vcc_lo, v7, v2
	v_add_co_ci_u32_e64 v3, null, v8, v3, vcc_lo
	v_cmp_gt_u32_e32 vcc_lo, 16, v0
	global_load_dwordx4 v[9:12], v[2:3], off
	s_waitcnt vmcnt(0) lgkmcnt(0)
	v_fma_mixlo_f16 v5, s1, v10, 0
	v_fma_mixlo_f16 v9, s1, v9, 0
	;; [unrolled: 1-line block ×4, first 2 shown]
	v_lshlrev_b32_e32 v12, 16, v5
	v_and_b32_e32 v9, 0xffff, v9
	v_lshlrev_b32_e32 v5, 3, v0
	v_lshlrev_b32_e32 v11, 16, v11
	v_and_b32_e32 v10, 0xffff, v10
	v_or_b32_e32 v9, v12, v9
	v_mad_u32_u24 v12, 0x600, v1, v5
	v_or3_b32 v10, v11, v10, 0
	v_or3_b32 v9, 0, 0, v9
	ds_write_b64 v12, v[9:10]
	s_and_saveexec_b32 s0, vcc_lo
	s_cbranch_execz .LBB9_4
; %bb.3:
	global_load_dwordx4 v[9:12], v[2:3], off offset:512
	s_waitcnt vmcnt(0)
	v_fma_mixlo_f16 v2, s1, v10, 0
	v_fma_mixlo_f16 v3, s1, v9, 0
	;; [unrolled: 1-line block ×4, first 2 shown]
	v_lshlrev_b32_e32 v2, 16, v2
	v_and_b32_e32 v3, 0xffff, v3
	v_and_b32_e32 v9, 0xffff, v9
	v_lshlrev_b32_e32 v10, 16, v10
	v_or_b32_e32 v2, v2, v3
	v_or3_b32 v3, v10, v9, 0
	v_add_nc_u32_e32 v9, v5, v29
	v_or3_b32 v2, 0, 0, v2
	ds_write_b64 v9, v[2:3] offset:256
.LBB9_4:
	s_or_b32 exec_lo, exec_lo, s0
	v_or_b32_e32 v13, 1, v6
	v_and_b32_e32 v9, 5, v13
	v_mul_u32_u24_e32 v14, 0x180, v13
	v_mad_u32_u24 v13, 0x180, v13, v5
	v_mad_u64_u32 v[2:3], null, s2, v9, 0
	v_mad_u64_u32 v[9:10], null, s3, v9, v[3:4]
	v_mov_b32_e32 v3, v9
	v_lshlrev_b64 v[2:3], 2, v[2:3]
	v_add_co_u32 v2, s0, v7, v2
	v_add_co_ci_u32_e64 v3, null, v8, v3, s0
	global_load_dwordx4 v[9:12], v[2:3], off
	s_waitcnt vmcnt(0)
	v_fma_mixlo_f16 v10, s1, v10, 0
	v_fma_mixlo_f16 v9, s1, v9, 0
	;; [unrolled: 1-line block ×4, first 2 shown]
	v_lshlrev_b32_e32 v10, 16, v10
	v_and_b32_e32 v9, 0xffff, v9
	v_and_b32_e32 v11, 0xffff, v11
	v_lshlrev_b32_e32 v12, 16, v12
	v_or_b32_e32 v9, v10, v9
	v_or3_b32 v11, v12, v11, 0
	v_or3_b32 v10, 0, 0, v9
	v_add_nc_u32_e32 v9, v5, v14
	ds_write_b64 v13, v[10:11]
	s_and_saveexec_b32 s0, vcc_lo
	s_cbranch_execz .LBB9_6
; %bb.5:
	global_load_dwordx4 v[10:13], v[2:3], off offset:512
	s_waitcnt vmcnt(0)
	v_fma_mixlo_f16 v2, s1, v11, 0
	v_fma_mixlo_f16 v3, s1, v10, 0
	;; [unrolled: 1-line block ×4, first 2 shown]
	v_lshlrev_b32_e32 v2, 16, v2
	v_and_b32_e32 v3, 0xffff, v3
	v_and_b32_e32 v10, 0xffff, v10
	v_lshlrev_b32_e32 v11, 16, v11
	v_or_b32_e32 v2, v2, v3
	v_or3_b32 v3, v11, v10, 0
	v_or3_b32 v2, 0, 0, v2
	ds_write_b64 v9, v[2:3] offset:256
.LBB9_6:
	s_or_b32 exec_lo, exec_lo, s0
	v_or_b32_e32 v2, 2, v6
	v_and_b32_e32 v10, 6, v2
	v_mad_u64_u32 v[2:3], null, s2, v10, 0
	v_mad_u64_u32 v[10:11], null, s3, v10, v[3:4]
	v_mov_b32_e32 v3, v10
	v_lshlrev_b64 v[2:3], 2, v[2:3]
	v_add_co_u32 v2, s0, v7, v2
	v_add_co_ci_u32_e64 v3, null, v8, v3, s0
	global_load_dwordx4 v[10:13], v[2:3], off
	s_waitcnt vmcnt(0)
	v_fma_mixlo_f16 v11, s1, v11, 0
	v_fma_mixlo_f16 v10, s1, v10, 0
	;; [unrolled: 1-line block ×4, first 2 shown]
	v_lshlrev_b32_e32 v11, 16, v11
	v_and_b32_e32 v10, 0xffff, v10
	v_and_b32_e32 v12, 0xffff, v12
	v_lshlrev_b32_e32 v13, 16, v13
	v_or_b32_e32 v10, v11, v10
	v_or3_b32 v11, v13, v12, 0
	v_or3_b32 v10, 0, 0, v10
	ds_write_b64 v9, v[10:11] offset:384
	s_and_saveexec_b32 s0, vcc_lo
	s_cbranch_execz .LBB9_8
; %bb.7:
	global_load_dwordx4 v[10:13], v[2:3], off offset:512
	s_waitcnt vmcnt(0)
	v_fma_mixlo_f16 v2, s1, v11, 0
	v_fma_mixlo_f16 v3, s1, v10, 0
	;; [unrolled: 1-line block ×4, first 2 shown]
	v_lshlrev_b32_e32 v2, 16, v2
	v_and_b32_e32 v3, 0xffff, v3
	v_and_b32_e32 v10, 0xffff, v10
	v_lshlrev_b32_e32 v11, 16, v11
	v_or_b32_e32 v2, v2, v3
	v_or3_b32 v3, v11, v10, 0
	v_or3_b32 v2, 0, 0, v2
	ds_write_b64 v9, v[2:3] offset:640
.LBB9_8:
	s_or_b32 exec_lo, exec_lo, s0
	v_or_b32_e32 v2, 3, v6
	v_and_b32_e32 v10, 7, v2
	v_mad_u64_u32 v[2:3], null, s2, v10, 0
	v_mad_u64_u32 v[10:11], null, s3, v10, v[3:4]
	v_mov_b32_e32 v3, v10
	v_lshlrev_b64 v[2:3], 2, v[2:3]
	v_add_co_u32 v2, s0, v7, v2
	v_add_co_ci_u32_e64 v3, null, v8, v3, s0
	global_load_dwordx4 v[10:13], v[2:3], off
	s_waitcnt vmcnt(0)
	v_fma_mixlo_f16 v7, s1, v11, 0
	v_fma_mixlo_f16 v8, s1, v10, 0
	v_fma_mixlo_f16 v10, s1, v12, 0
	v_fma_mixlo_f16 v11, s1, v13, 0
	v_lshlrev_b32_e32 v7, 16, v7
	v_and_b32_e32 v8, 0xffff, v8
	v_and_b32_e32 v10, 0xffff, v10
	v_lshlrev_b32_e32 v11, 16, v11
	v_or_b32_e32 v7, v7, v8
	v_or3_b32 v8, v11, v10, 0
	v_or3_b32 v7, 0, 0, v7
	ds_write_b64 v9, v[7:8] offset:768
	s_and_saveexec_b32 s0, vcc_lo
	s_cbranch_execz .LBB9_10
; %bb.9:
	global_load_dwordx4 v[10:13], v[2:3], off offset:512
	s_waitcnt vmcnt(0)
	v_fma_mixlo_f16 v2, s1, v11, 0
	v_fma_mixlo_f16 v3, s1, v10, 0
	;; [unrolled: 1-line block ×4, first 2 shown]
	v_lshlrev_b32_e32 v2, 16, v2
	v_and_b32_e32 v3, 0xffff, v3
	v_and_b32_e32 v7, 0xffff, v7
	v_lshlrev_b32_e32 v8, 16, v8
	v_or_b32_e32 v2, v2, v3
	v_or3_b32 v3, v8, v7, 0
	v_or3_b32 v2, 0, 0, v2
	ds_write_b64 v9, v[2:3] offset:1024
.LBB9_10:
	s_or_b32 exec_lo, exec_lo, s0
	s_cmp_eq_u64 s[18:19], 0
	s_waitcnt lgkmcnt(0)
	s_barrier
	buffer_gl0_inv
	s_cbranch_scc1 .LBB9_12
; %bb.11:
	s_load_dword s0, s[4:5], 0xd0
	s_mov_b32 s1, 0
	s_waitcnt lgkmcnt(0)
	s_mul_i32 s0, s0, s29
	s_add_i32 s0, s0, s6
	s_lshl_b64 s[0:1], s[0:1], 2
	s_add_u32 s0, s18, s0
	s_addc_u32 s1, s19, s1
	s_load_dword s30, s[0:1], 0x0
.LBB9_12:
	v_mbcnt_lo_u32_b32 v30, -1, 0
	s_lshl_b32 s9, s28, 6
	s_waitcnt lgkmcnt(0)
	s_cmp_lt_i32 s9, s30
	s_cbranch_scc1 .LBB9_15
; %bb.13:
	v_mbcnt_lo_u32_b32 v8, -1, 0
	v_mov_b32_e32 v7, 32
	v_xor_b32_e32 v35, 16, v8
	v_xor_b32_e32 v34, 8, v8
	;; [unrolled: 1-line block ×5, first 2 shown]
	v_lshlrev_b32_e32 v28, 2, v0
	s_cbranch_execz .LBB9_16
; %bb.14:
	v_mov_b32_e32 v60, 0
	v_mov_b32_e32 v36, 0
	;; [unrolled: 1-line block ×16, first 2 shown]
	s_branch .LBB9_19
.LBB9_15:
                                        ; implicit-def: $vgpr8
                                        ; implicit-def: $vgpr7
                                        ; implicit-def: $vgpr35
                                        ; implicit-def: $vgpr34
                                        ; implicit-def: $vgpr33
                                        ; implicit-def: $vgpr32
                                        ; implicit-def: $vgpr31
	v_lshlrev_b32_e32 v28, 2, v0
.LBB9_16:
	s_clause 0x1
	s_load_dwordx4 s[0:3], s[4:5], 0x98
	s_load_dwordx2 s[18:19], s[4:5], 0x8c
	s_sub_i32 s6, 0, s7
	s_abs_i32 s8, s33
	s_mul_i32 s6, s6, s38
	s_ashr_i32 s36, s33, 31
	s_mul_hi_u32 s6, s38, s6
	s_ashr_i32 s31, s31, 31
	s_add_i32 s38, s38, s6
	s_ashr_i32 s6, s37, 1
	s_mul_hi_u32 s37, s8, s38
	s_ashr_i32 s38, s29, 31
	s_load_dwordx2 s[24:25], s[4:5], 0xa8
	s_mul_i32 s39, s37, s7
	v_lshrrev_b32_e32 v2, 3, v0
	v_lshrrev_b32_e32 v7, 4, v0
	v_and_b32_e32 v12, 28, v28
	v_and_b32_e32 v13, 60, v28
	v_lshl_add_u32 v43, v1, 9, 0x5400
	v_add_nc_u32_e32 v3, v2, v6
	s_waitcnt lgkmcnt(0)
	s_ashr_i32 s14, s2, 2
	s_ashr_i32 s15, s18, 2
	s_mul_hi_u32 s2, s0, s29
	s_mul_i32 s18, s0, s38
	s_mul_i32 s1, s1, s29
	s_add_i32 s2, s2, s18
	s_mul_i32 s0, s0, s29
	s_add_i32 s2, s2, s1
	s_add_u32 s0, s10, s0
	s_addc_u32 s1, s11, s2
	s_sub_i32 s8, s8, s39
	s_xor_b32 s2, s36, s31
	s_add_i32 s10, s37, 1
	s_sub_i32 s11, s8, s7
	s_cmp_ge_u32 s8, s7
	v_lshl_add_u32 v10, v1, 1, v7
	s_cselect_b32 s10, s10, s37
	s_cselect_b32 s8, s11, s8
	s_add_i32 s11, s10, 1
	s_cmp_ge_u32 s8, s7
	v_mul_lo_u32 v2, s15, v3
	v_mul_lo_u32 v8, s14, v10
	s_cselect_b32 s7, s11, s10
	v_lshlrev_b32_e32 v6, 2, v12
	v_lshlrev_b32_e32 v11, 2, v13
	s_xor_b32 s7, s7, s2
	s_mul_hi_u32 s8, s24, s29
	s_sub_i32 s2, s7, s2
	v_mad_u32_u24 v9, 0x90, v3, v6
	s_mul_i32 s10, s2, s19
	v_lshl_add_u32 v6, s15, 5, v2
	v_lshl_or_b32 v11, v10, 8, v11
	v_lshl_add_u32 v10, s14, 4, v8
	s_mul_i32 s7, s24, s38
	s_ashr_i32 s19, s10, 31
	s_add_u32 s18, s0, s10
	s_mul_i32 s11, s25, s29
	s_addc_u32 s19, s1, s19
	s_add_i32 s0, s8, s7
	s_mul_i32 s1, s24, s29
	v_add_nc_u32_e32 v40, 0x3000, v9
	v_ashrrev_i32_e32 v3, 31, v2
	v_add_nc_u32_e32 v41, 0x4200, v9
	v_ashrrev_i32_e32 v7, 31, v6
	;; [unrolled: 2-line block ×4, first 2 shown]
	s_add_i32 s0, s0, s11
	s_mul_i32 s2, s2, s3
	s_add_u32 s1, s12, s1
	s_addc_u32 s0, s13, s0
	s_ashr_i32 s3, s2, 31
	v_mad_u64_u32 v[18:19], null, v4, s6, v[0:1]
	s_add_u32 s12, s1, s2
	s_movk_i32 s1, 0x3000
	v_lshlrev_b64 v[19:20], 2, v[2:3]
	v_lshlrev_b64 v[21:22], 2, v[6:7]
	;; [unrolled: 1-line block ×4, first 2 shown]
	v_mov_b32_e32 v54, 0
	v_mad_u32_u24 v42, 0x90, v0, s1
	v_mov_b32_e32 v1, 0xfeffffff
	v_lshlrev_b32_e32 v46, 2, v12
	v_xor_b32_e32 v35, 16, v30
	v_xor_b32_e32 v34, 8, v30
	;; [unrolled: 1-line block ×5, first 2 shown]
	v_add_nc_u32_e32 v47, v43, v5
	v_lshlrev_b32_e32 v48, 2, v13
	v_mov_b32_e32 v49, 0x10001
	v_add_nc_u32_e32 v50, 0x3000, v5
	v_add_nc_u32_e32 v51, 0x3800, v5
	v_add_nc_u32_e32 v52, 0x4000, v5
	v_add_nc_u32_e32 v53, 0x4800, v5
	v_mov_b32_e32 v55, 0
	v_mov_b32_e32 v56, 0
	;; [unrolled: 1-line block ×14, first 2 shown]
	s_addc_u32 s13, s0, s3
	s_add_u32 s10, s4, 0xd0
	s_addc_u32 s11, s5, 0
.LBB9_17:                               ; =>This Inner Loop Header: Depth=1
	v_cmp_gt_i32_e32 vcc_lo, 32, v35
	v_mov_b32_e32 v63, v3
	v_mov_b32_e32 v62, v4
	s_mul_hi_i32 s1, s9, s15
	s_mul_i32 s0, s9, s15
	v_cndmask_b32_e32 v3, v30, v35, vcc_lo
	v_cmp_gt_i32_e32 vcc_lo, 32, v34
	s_lshl_b64 s[0:1], s[0:1], 2
	v_mov_b32_e32 v65, v1
	v_add_nc_u32_e32 v1, s9, v18
	s_mul_hi_i32 s3, s9, s14
	v_cndmask_b32_e32 v4, v30, v34, vcc_lo
	v_cmp_gt_i32_e32 vcc_lo, 32, v33
	s_mul_i32 s2, s9, s14
	s_add_u32 s0, s18, s0
	s_addc_u32 s1, s19, s1
	s_lshl_b64 s[2:3], s[2:3], 2
	v_cndmask_b32_e32 v5, v30, v33, vcc_lo
	v_cmp_gt_i32_e32 vcc_lo, 32, v32
	v_lshlrev_b32_e32 v72, 2, v3
	v_lshlrev_b32_e32 v71, 2, v4
	v_mov_b32_e32 v64, v2
	v_ashrrev_i32_e32 v2, 31, v1
	v_cndmask_b32_e32 v6, v30, v32, vcc_lo
	v_cmp_gt_i32_e32 vcc_lo, 32, v31
	v_lshlrev_b32_e32 v70, 2, v5
	v_mov_b32_e32 v11, 0
	v_mov_b32_e32 v12, 0
	v_lshlrev_b32_e32 v69, 2, v6
	v_cndmask_b32_e32 v7, v30, v31, vcc_lo
	v_add_co_u32 v3, vcc_lo, s0, v21
	v_add_co_u32 v4, s0, s0, v19
	v_add_co_ci_u32_e64 v8, null, s1, v20, s0
	s_add_u32 s0, s12, s2
	v_add_co_ci_u32_e64 v73, null, s1, v22, vcc_lo
	s_addc_u32 s1, s13, s3
	v_add_co_u32 v74, vcc_lo, s0, v23
	v_add_co_u32 v75, s0, s0, v25
	v_add_co_ci_u32_e64 v76, null, s1, v26, s0
	v_add_co_u32 v9, s0, v4, v46
	v_lshlrev_b32_e32 v68, 2, v7
	v_lshlrev_b64 v[5:6], 1, v[1:2]
	v_add_co_ci_u32_e64 v2, null, s1, v24, vcc_lo
	v_add_co_u32 v7, vcc_lo, v3, v46
	v_add_co_ci_u32_e64 v10, null, 0, v8, s0
	v_add_co_ci_u32_e64 v8, null, 0, v73, vcc_lo
	v_add_co_u32 v1, vcc_lo, v75, v48
	v_add_co_u32 v3, s0, v74, v48
	v_add_co_ci_u32_e64 v4, null, 0, v2, s0
	v_add_co_ci_u32_e64 v2, null, 0, v76, vcc_lo
	s_clause 0x1
	global_load_dwordx4 v[73:76], v[9:10], off
	global_load_dwordx4 v[77:80], v[7:8], off
	v_mov_b32_e32 v13, 0
	v_mov_b32_e32 v14, 0
	;; [unrolled: 1-line block ×6, first 2 shown]
	v_add_co_u32 v5, vcc_lo, s34, v5
	v_add_co_ci_u32_e64 v6, null, s35, v6, vcc_lo
	s_waitcnt vmcnt(1)
	ds_write_b128 v40, v[73:76]
	s_waitcnt vmcnt(0)
	ds_write_b128 v41, v[77:80]
	s_waitcnt lgkmcnt(0)
	s_barrier
	buffer_gl0_inv
	ds_read_b128 v[73:76], v42
	ds_read_b128 v[77:80], v29
	ds_read_b128 v[81:84], v29 offset:384
	ds_read_b128 v[85:88], v29 offset:768
	;; [unrolled: 1-line block ×4, first 2 shown]
	s_waitcnt lgkmcnt(4)
	;;#ASMSTART
	v_dot2_f32_f16 v11, v73, v77, v11
	;;#ASMEND
	;;#ASMSTART
	v_dot2_f32_f16 v11, v74, v78, v11
	;;#ASMEND
	;;#ASMSTART
	v_dot2_f32_f16 v11, v75, v79, v11
	;;#ASMEND
	;;#ASMSTART
	v_dot2_f32_f16 v11, v76, v80, v11
	;;#ASMEND
	s_waitcnt lgkmcnt(3)
	;;#ASMSTART
	v_dot2_f32_f16 v12, v73, v81, v12
	;;#ASMEND
	;;#ASMSTART
	v_dot2_f32_f16 v12, v74, v82, v12
	;;#ASMEND
	;;#ASMSTART
	v_dot2_f32_f16 v12, v75, v83, v12
	;;#ASMEND
	;;#ASMSTART
	v_dot2_f32_f16 v12, v76, v84, v12
	;;#ASMEND
	;; [unrolled: 13-line block ×5, first 2 shown]
	;;#ASMSTART
	v_dot2_f32_f16 v16, v93, v81, v16
	;;#ASMEND
	;;#ASMSTART
	v_dot2_f32_f16 v16, v94, v82, v16
	;;#ASMEND
	;; [unrolled: 3-line block ×12, first 2 shown]
	ds_read_b128 v[73:76], v42 offset:16
	ds_read_b128 v[77:80], v29 offset:16
	;; [unrolled: 1-line block ×6, first 2 shown]
	s_waitcnt lgkmcnt(4)
	;;#ASMSTART
	v_dot2_f32_f16 v11, v73, v77, v11
	;;#ASMEND
	;;#ASMSTART
	v_dot2_f32_f16 v11, v74, v78, v11
	;;#ASMEND
	;;#ASMSTART
	v_dot2_f32_f16 v11, v75, v79, v11
	;;#ASMEND
	;;#ASMSTART
	v_dot2_f32_f16 v11, v76, v80, v11
	;;#ASMEND
	s_waitcnt lgkmcnt(3)
	;;#ASMSTART
	v_dot2_f32_f16 v12, v73, v81, v12
	;;#ASMEND
	;;#ASMSTART
	v_dot2_f32_f16 v12, v74, v82, v12
	;;#ASMEND
	;;#ASMSTART
	v_dot2_f32_f16 v12, v75, v83, v12
	;;#ASMEND
	;;#ASMSTART
	v_dot2_f32_f16 v12, v76, v84, v12
	;;#ASMEND
	;; [unrolled: 13-line block ×5, first 2 shown]
	;;#ASMSTART
	v_dot2_f32_f16 v16, v93, v81, v16
	;;#ASMEND
	;;#ASMSTART
	v_dot2_f32_f16 v16, v94, v82, v16
	;;#ASMEND
	;; [unrolled: 3-line block ×12, first 2 shown]
	ds_read_b128 v[73:76], v42 offset:32
	ds_read_b128 v[77:80], v29 offset:32
	;; [unrolled: 1-line block ×6, first 2 shown]
	s_waitcnt lgkmcnt(4)
	;;#ASMSTART
	v_dot2_f32_f16 v11, v73, v77, v11
	;;#ASMEND
	;;#ASMSTART
	v_dot2_f32_f16 v11, v74, v78, v11
	;;#ASMEND
	;;#ASMSTART
	v_dot2_f32_f16 v11, v75, v79, v11
	;;#ASMEND
	;;#ASMSTART
	v_dot2_f32_f16 v11, v76, v80, v11
	;;#ASMEND
	s_waitcnt lgkmcnt(3)
	;;#ASMSTART
	v_dot2_f32_f16 v12, v73, v81, v12
	;;#ASMEND
	;;#ASMSTART
	v_dot2_f32_f16 v12, v74, v82, v12
	;;#ASMEND
	;;#ASMSTART
	v_dot2_f32_f16 v12, v75, v83, v12
	;;#ASMEND
	;;#ASMSTART
	v_dot2_f32_f16 v12, v76, v84, v12
	;;#ASMEND
	;; [unrolled: 13-line block ×5, first 2 shown]
	;;#ASMSTART
	v_dot2_f32_f16 v16, v93, v81, v16
	;;#ASMEND
	;;#ASMSTART
	v_dot2_f32_f16 v16, v94, v82, v16
	;;#ASMEND
	;; [unrolled: 3-line block ×12, first 2 shown]
	ds_read_b128 v[73:76], v42 offset:48
	ds_read_b128 v[77:80], v29 offset:48
	;; [unrolled: 1-line block ×6, first 2 shown]
	s_waitcnt lgkmcnt(4)
	;;#ASMSTART
	v_dot2_f32_f16 v11, v73, v77, v11
	;;#ASMEND
	;;#ASMSTART
	v_dot2_f32_f16 v11, v74, v78, v11
	;;#ASMEND
	;;#ASMSTART
	v_dot2_f32_f16 v11, v75, v79, v11
	;;#ASMEND
	;;#ASMSTART
	v_dot2_f32_f16 v11, v76, v80, v11
	;;#ASMEND
	s_waitcnt lgkmcnt(3)
	;;#ASMSTART
	v_dot2_f32_f16 v12, v73, v81, v12
	;;#ASMEND
	;;#ASMSTART
	v_dot2_f32_f16 v12, v74, v82, v12
	;;#ASMEND
	;;#ASMSTART
	v_dot2_f32_f16 v12, v75, v83, v12
	;;#ASMEND
	;;#ASMSTART
	v_dot2_f32_f16 v12, v76, v84, v12
	;;#ASMEND
	;; [unrolled: 13-line block ×5, first 2 shown]
	;;#ASMSTART
	v_dot2_f32_f16 v16, v93, v81, v16
	;;#ASMEND
	;;#ASMSTART
	v_dot2_f32_f16 v16, v94, v82, v16
	;;#ASMEND
	;;#ASMSTART
	v_dot2_f32_f16 v16, v95, v83, v16
	;;#ASMEND
	;;#ASMSTART
	v_dot2_f32_f16 v16, v96, v84, v16
	;;#ASMEND
	;;#ASMSTART
	v_dot2_f32_f16 v66, v93, v85, v66
	;;#ASMEND
	;;#ASMSTART
	v_dot2_f32_f16 v66, v94, v86, v66
	;;#ASMEND
	;;#ASMSTART
	v_dot2_f32_f16 v66, v95, v87, v66
	;;#ASMEND
	;;#ASMSTART
	v_dot2_f32_f16 v66, v96, v88, v66
	;;#ASMEND
	;;#ASMSTART
	v_dot2_f32_f16 v67, v93, v89, v67
	;;#ASMEND
	;;#ASMSTART
	v_dot2_f32_f16 v67, v94, v90, v67
	;;#ASMEND
	;;#ASMSTART
	v_dot2_f32_f16 v67, v95, v91, v67
	;;#ASMEND
	;;#ASMSTART
	v_dot2_f32_f16 v67, v96, v92, v67
	;;#ASMEND
	ds_read_b128 v[73:76], v42 offset:64
	ds_read_b128 v[77:80], v29 offset:64
	;; [unrolled: 1-line block ×6, first 2 shown]
	s_waitcnt lgkmcnt(4)
	;;#ASMSTART
	v_dot2_f32_f16 v11, v73, v77, v11
	;;#ASMEND
	;;#ASMSTART
	v_dot2_f32_f16 v11, v74, v78, v11
	;;#ASMEND
	;;#ASMSTART
	v_dot2_f32_f16 v11, v75, v79, v11
	;;#ASMEND
	;;#ASMSTART
	v_dot2_f32_f16 v11, v76, v80, v11
	;;#ASMEND
	s_waitcnt lgkmcnt(3)
	;;#ASMSTART
	v_dot2_f32_f16 v12, v73, v81, v12
	;;#ASMEND
	;;#ASMSTART
	v_dot2_f32_f16 v12, v74, v82, v12
	;;#ASMEND
	;;#ASMSTART
	v_dot2_f32_f16 v12, v75, v83, v12
	;;#ASMEND
	;;#ASMSTART
	v_dot2_f32_f16 v12, v76, v84, v12
	;;#ASMEND
	;; [unrolled: 13-line block ×5, first 2 shown]
	;;#ASMSTART
	v_dot2_f32_f16 v16, v93, v81, v16
	;;#ASMEND
	;;#ASMSTART
	v_dot2_f32_f16 v16, v94, v82, v16
	;;#ASMEND
	;;#ASMSTART
	v_dot2_f32_f16 v16, v95, v83, v16
	;;#ASMEND
	;;#ASMSTART
	v_dot2_f32_f16 v16, v96, v84, v16
	;;#ASMEND
	;;#ASMSTART
	v_dot2_f32_f16 v66, v93, v85, v66
	;;#ASMEND
	;;#ASMSTART
	v_dot2_f32_f16 v66, v94, v86, v66
	;;#ASMEND
	;;#ASMSTART
	v_dot2_f32_f16 v66, v95, v87, v66
	;;#ASMEND
	;;#ASMSTART
	v_dot2_f32_f16 v66, v96, v88, v66
	;;#ASMEND
	;;#ASMSTART
	v_dot2_f32_f16 v67, v93, v89, v67
	;;#ASMEND
	;;#ASMSTART
	v_dot2_f32_f16 v67, v94, v90, v67
	;;#ASMEND
	;;#ASMSTART
	v_dot2_f32_f16 v67, v95, v91, v67
	;;#ASMEND
	;;#ASMSTART
	v_dot2_f32_f16 v67, v96, v92, v67
	;;#ASMEND
	ds_read_b128 v[73:76], v42 offset:80
	ds_read_b128 v[77:80], v29 offset:80
	;; [unrolled: 1-line block ×6, first 2 shown]
	s_waitcnt lgkmcnt(4)
	;;#ASMSTART
	v_dot2_f32_f16 v11, v73, v77, v11
	;;#ASMEND
	;;#ASMSTART
	v_dot2_f32_f16 v11, v74, v78, v11
	;;#ASMEND
	;;#ASMSTART
	v_dot2_f32_f16 v11, v75, v79, v11
	;;#ASMEND
	;;#ASMSTART
	v_dot2_f32_f16 v11, v76, v80, v11
	;;#ASMEND
	s_waitcnt lgkmcnt(3)
	;;#ASMSTART
	v_dot2_f32_f16 v12, v73, v81, v12
	;;#ASMEND
	;;#ASMSTART
	v_dot2_f32_f16 v12, v74, v82, v12
	;;#ASMEND
	;;#ASMSTART
	v_dot2_f32_f16 v12, v75, v83, v12
	;;#ASMEND
	;;#ASMSTART
	v_dot2_f32_f16 v12, v76, v84, v12
	;;#ASMEND
	;; [unrolled: 13-line block ×5, first 2 shown]
	;;#ASMSTART
	v_dot2_f32_f16 v16, v93, v81, v16
	;;#ASMEND
	;;#ASMSTART
	v_dot2_f32_f16 v16, v94, v82, v16
	;;#ASMEND
	;; [unrolled: 3-line block ×12, first 2 shown]
	ds_read_b128 v[73:76], v42 offset:96
	ds_read_b128 v[77:80], v29 offset:96
	;; [unrolled: 1-line block ×6, first 2 shown]
	s_waitcnt lgkmcnt(4)
	;;#ASMSTART
	v_dot2_f32_f16 v11, v73, v77, v11
	;;#ASMEND
	;;#ASMSTART
	v_dot2_f32_f16 v11, v74, v78, v11
	;;#ASMEND
	;;#ASMSTART
	v_dot2_f32_f16 v11, v75, v79, v11
	;;#ASMEND
	;;#ASMSTART
	v_dot2_f32_f16 v11, v76, v80, v11
	;;#ASMEND
	s_waitcnt lgkmcnt(3)
	;;#ASMSTART
	v_dot2_f32_f16 v12, v73, v81, v12
	;;#ASMEND
	;;#ASMSTART
	v_dot2_f32_f16 v12, v74, v82, v12
	;;#ASMEND
	;;#ASMSTART
	v_dot2_f32_f16 v12, v75, v83, v12
	;;#ASMEND
	;;#ASMSTART
	v_dot2_f32_f16 v12, v76, v84, v12
	;;#ASMEND
	;; [unrolled: 13-line block ×5, first 2 shown]
	;;#ASMSTART
	v_dot2_f32_f16 v16, v93, v81, v16
	;;#ASMEND
	;;#ASMSTART
	v_dot2_f32_f16 v16, v94, v82, v16
	;;#ASMEND
	;;#ASMSTART
	v_dot2_f32_f16 v16, v95, v83, v16
	;;#ASMEND
	;;#ASMSTART
	v_dot2_f32_f16 v16, v96, v84, v16
	;;#ASMEND
	;;#ASMSTART
	v_dot2_f32_f16 v66, v93, v85, v66
	;;#ASMEND
	;;#ASMSTART
	v_dot2_f32_f16 v66, v94, v86, v66
	;;#ASMEND
	;;#ASMSTART
	v_dot2_f32_f16 v66, v95, v87, v66
	;;#ASMEND
	;;#ASMSTART
	v_dot2_f32_f16 v66, v96, v88, v66
	;;#ASMEND
	;;#ASMSTART
	v_dot2_f32_f16 v67, v93, v89, v67
	;;#ASMEND
	;;#ASMSTART
	v_dot2_f32_f16 v67, v94, v90, v67
	;;#ASMEND
	;;#ASMSTART
	v_dot2_f32_f16 v67, v95, v91, v67
	;;#ASMEND
	;;#ASMSTART
	v_dot2_f32_f16 v67, v96, v92, v67
	;;#ASMEND
	ds_read_b128 v[73:76], v42 offset:112
	ds_read_b128 v[77:80], v29 offset:112
	;; [unrolled: 1-line block ×6, first 2 shown]
	s_waitcnt lgkmcnt(4)
	;;#ASMSTART
	v_dot2_f32_f16 v11, v73, v77, v11
	;;#ASMEND
	;;#ASMSTART
	v_dot2_f32_f16 v11, v74, v78, v11
	;;#ASMEND
	;;#ASMSTART
	v_dot2_f32_f16 v11, v75, v79, v11
	;;#ASMEND
	;;#ASMSTART
	v_dot2_f32_f16 v11, v76, v80, v11
	;;#ASMEND
	s_waitcnt lgkmcnt(3)
	;;#ASMSTART
	v_dot2_f32_f16 v12, v73, v81, v12
	;;#ASMEND
	;;#ASMSTART
	v_dot2_f32_f16 v12, v74, v82, v12
	;;#ASMEND
	;;#ASMSTART
	v_dot2_f32_f16 v12, v75, v83, v12
	;;#ASMEND
	;;#ASMSTART
	v_dot2_f32_f16 v12, v76, v84, v12
	;;#ASMEND
	;; [unrolled: 13-line block ×5, first 2 shown]
	;;#ASMSTART
	v_dot2_f32_f16 v16, v93, v81, v16
	;;#ASMEND
	;;#ASMSTART
	v_dot2_f32_f16 v16, v94, v82, v16
	;;#ASMEND
	;; [unrolled: 3-line block ×12, first 2 shown]
	s_barrier
	buffer_gl0_inv
	s_clause 0x1
	global_load_dwordx4 v[73:76], v[9:10], off offset:128
	global_load_dwordx4 v[77:80], v[7:8], off offset:128
	s_waitcnt vmcnt(1)
	ds_write_b128 v40, v[73:76]
	s_waitcnt vmcnt(0)
	ds_write_b128 v41, v[77:80]
	s_waitcnt lgkmcnt(0)
	s_barrier
	buffer_gl0_inv
	ds_read_b128 v[73:76], v42
	ds_read_b128 v[77:80], v29 offset:128
	ds_read_b128 v[81:84], v29 offset:512
	;; [unrolled: 1-line block ×5, first 2 shown]
	s_waitcnt lgkmcnt(4)
	;;#ASMSTART
	v_dot2_f32_f16 v11, v73, v77, v11
	;;#ASMEND
	;;#ASMSTART
	v_dot2_f32_f16 v11, v74, v78, v11
	;;#ASMEND
	;;#ASMSTART
	v_dot2_f32_f16 v11, v75, v79, v11
	;;#ASMEND
	;;#ASMSTART
	v_dot2_f32_f16 v11, v76, v80, v11
	;;#ASMEND
	s_waitcnt lgkmcnt(3)
	;;#ASMSTART
	v_dot2_f32_f16 v12, v73, v81, v12
	;;#ASMEND
	;;#ASMSTART
	v_dot2_f32_f16 v12, v74, v82, v12
	;;#ASMEND
	;;#ASMSTART
	v_dot2_f32_f16 v12, v75, v83, v12
	;;#ASMEND
	;;#ASMSTART
	v_dot2_f32_f16 v12, v76, v84, v12
	;;#ASMEND
	;; [unrolled: 13-line block ×5, first 2 shown]
	;;#ASMSTART
	v_dot2_f32_f16 v16, v93, v81, v16
	;;#ASMEND
	;;#ASMSTART
	v_dot2_f32_f16 v16, v94, v82, v16
	;;#ASMEND
	;; [unrolled: 3-line block ×12, first 2 shown]
	ds_read_b128 v[73:76], v42 offset:16
	ds_read_b128 v[77:80], v29 offset:144
	;; [unrolled: 1-line block ×6, first 2 shown]
	s_waitcnt lgkmcnt(4)
	;;#ASMSTART
	v_dot2_f32_f16 v11, v73, v77, v11
	;;#ASMEND
	;;#ASMSTART
	v_dot2_f32_f16 v11, v74, v78, v11
	;;#ASMEND
	;;#ASMSTART
	v_dot2_f32_f16 v11, v75, v79, v11
	;;#ASMEND
	;;#ASMSTART
	v_dot2_f32_f16 v11, v76, v80, v11
	;;#ASMEND
	s_waitcnt lgkmcnt(3)
	;;#ASMSTART
	v_dot2_f32_f16 v12, v73, v81, v12
	;;#ASMEND
	;;#ASMSTART
	v_dot2_f32_f16 v12, v74, v82, v12
	;;#ASMEND
	;;#ASMSTART
	v_dot2_f32_f16 v12, v75, v83, v12
	;;#ASMEND
	;;#ASMSTART
	v_dot2_f32_f16 v12, v76, v84, v12
	;;#ASMEND
	;; [unrolled: 13-line block ×5, first 2 shown]
	;;#ASMSTART
	v_dot2_f32_f16 v16, v93, v81, v16
	;;#ASMEND
	;;#ASMSTART
	v_dot2_f32_f16 v16, v94, v82, v16
	;;#ASMEND
	;; [unrolled: 3-line block ×12, first 2 shown]
	ds_read_b128 v[73:76], v42 offset:32
	ds_read_b128 v[77:80], v29 offset:160
	;; [unrolled: 1-line block ×6, first 2 shown]
	s_waitcnt lgkmcnt(4)
	;;#ASMSTART
	v_dot2_f32_f16 v11, v73, v77, v11
	;;#ASMEND
	;;#ASMSTART
	v_dot2_f32_f16 v11, v74, v78, v11
	;;#ASMEND
	;;#ASMSTART
	v_dot2_f32_f16 v11, v75, v79, v11
	;;#ASMEND
	;;#ASMSTART
	v_dot2_f32_f16 v11, v76, v80, v11
	;;#ASMEND
	s_waitcnt lgkmcnt(3)
	;;#ASMSTART
	v_dot2_f32_f16 v12, v73, v81, v12
	;;#ASMEND
	;;#ASMSTART
	v_dot2_f32_f16 v12, v74, v82, v12
	;;#ASMEND
	;;#ASMSTART
	v_dot2_f32_f16 v12, v75, v83, v12
	;;#ASMEND
	;;#ASMSTART
	v_dot2_f32_f16 v12, v76, v84, v12
	;;#ASMEND
	;; [unrolled: 13-line block ×5, first 2 shown]
	;;#ASMSTART
	v_dot2_f32_f16 v16, v93, v81, v16
	;;#ASMEND
	;;#ASMSTART
	v_dot2_f32_f16 v16, v94, v82, v16
	;;#ASMEND
	;; [unrolled: 3-line block ×12, first 2 shown]
	ds_read_b128 v[73:76], v42 offset:48
	ds_read_b128 v[77:80], v29 offset:176
	;; [unrolled: 1-line block ×6, first 2 shown]
	s_waitcnt lgkmcnt(4)
	;;#ASMSTART
	v_dot2_f32_f16 v11, v73, v77, v11
	;;#ASMEND
	;;#ASMSTART
	v_dot2_f32_f16 v11, v74, v78, v11
	;;#ASMEND
	;;#ASMSTART
	v_dot2_f32_f16 v11, v75, v79, v11
	;;#ASMEND
	;;#ASMSTART
	v_dot2_f32_f16 v11, v76, v80, v11
	;;#ASMEND
	s_waitcnt lgkmcnt(3)
	;;#ASMSTART
	v_dot2_f32_f16 v12, v73, v81, v12
	;;#ASMEND
	;;#ASMSTART
	v_dot2_f32_f16 v12, v74, v82, v12
	;;#ASMEND
	;;#ASMSTART
	v_dot2_f32_f16 v12, v75, v83, v12
	;;#ASMEND
	;;#ASMSTART
	v_dot2_f32_f16 v12, v76, v84, v12
	;;#ASMEND
	;; [unrolled: 13-line block ×5, first 2 shown]
	;;#ASMSTART
	v_dot2_f32_f16 v16, v93, v81, v16
	;;#ASMEND
	;;#ASMSTART
	v_dot2_f32_f16 v16, v94, v82, v16
	;;#ASMEND
	;; [unrolled: 3-line block ×12, first 2 shown]
	ds_read_b128 v[73:76], v42 offset:64
	ds_read_b128 v[77:80], v29 offset:192
	;; [unrolled: 1-line block ×6, first 2 shown]
	s_waitcnt lgkmcnt(4)
	;;#ASMSTART
	v_dot2_f32_f16 v11, v73, v77, v11
	;;#ASMEND
	;;#ASMSTART
	v_dot2_f32_f16 v11, v74, v78, v11
	;;#ASMEND
	;;#ASMSTART
	v_dot2_f32_f16 v11, v75, v79, v11
	;;#ASMEND
	;;#ASMSTART
	v_dot2_f32_f16 v11, v76, v80, v11
	;;#ASMEND
	s_waitcnt lgkmcnt(3)
	;;#ASMSTART
	v_dot2_f32_f16 v12, v73, v81, v12
	;;#ASMEND
	;;#ASMSTART
	v_dot2_f32_f16 v12, v74, v82, v12
	;;#ASMEND
	;;#ASMSTART
	v_dot2_f32_f16 v12, v75, v83, v12
	;;#ASMEND
	;;#ASMSTART
	v_dot2_f32_f16 v12, v76, v84, v12
	;;#ASMEND
	;; [unrolled: 13-line block ×5, first 2 shown]
	;;#ASMSTART
	v_dot2_f32_f16 v16, v93, v81, v16
	;;#ASMEND
	;;#ASMSTART
	v_dot2_f32_f16 v16, v94, v82, v16
	;;#ASMEND
	;; [unrolled: 3-line block ×12, first 2 shown]
	ds_read_b128 v[73:76], v42 offset:80
	ds_read_b128 v[77:80], v29 offset:208
	;; [unrolled: 1-line block ×6, first 2 shown]
	s_waitcnt lgkmcnt(4)
	;;#ASMSTART
	v_dot2_f32_f16 v11, v73, v77, v11
	;;#ASMEND
	;;#ASMSTART
	v_dot2_f32_f16 v11, v74, v78, v11
	;;#ASMEND
	;;#ASMSTART
	v_dot2_f32_f16 v11, v75, v79, v11
	;;#ASMEND
	;;#ASMSTART
	v_dot2_f32_f16 v11, v76, v80, v11
	;;#ASMEND
	s_waitcnt lgkmcnt(3)
	;;#ASMSTART
	v_dot2_f32_f16 v12, v73, v81, v12
	;;#ASMEND
	;;#ASMSTART
	v_dot2_f32_f16 v12, v74, v82, v12
	;;#ASMEND
	;;#ASMSTART
	v_dot2_f32_f16 v12, v75, v83, v12
	;;#ASMEND
	;;#ASMSTART
	v_dot2_f32_f16 v12, v76, v84, v12
	;;#ASMEND
	s_waitcnt lgkmcnt(2)
	;;#ASMSTART
	v_dot2_f32_f16 v13, v73, v85, v13
	;;#ASMEND
	;;#ASMSTART
	v_dot2_f32_f16 v13, v74, v86, v13
	;;#ASMEND
	;;#ASMSTART
	v_dot2_f32_f16 v13, v75, v87, v13
	;;#ASMEND
	;;#ASMSTART
	v_dot2_f32_f16 v13, v76, v88, v13
	;;#ASMEND
	s_waitcnt lgkmcnt(1)
	;;#ASMSTART
	v_dot2_f32_f16 v14, v73, v89, v14
	;;#ASMEND
	;;#ASMSTART
	v_dot2_f32_f16 v14, v74, v90, v14
	;;#ASMEND
	;;#ASMSTART
	v_dot2_f32_f16 v14, v75, v91, v14
	;;#ASMEND
	;;#ASMSTART
	v_dot2_f32_f16 v14, v76, v92, v14
	;;#ASMEND
	s_waitcnt lgkmcnt(0)
	;;#ASMSTART
	v_dot2_f32_f16 v15, v93, v77, v15
	;;#ASMEND
	;;#ASMSTART
	v_dot2_f32_f16 v15, v94, v78, v15
	;;#ASMEND
	;;#ASMSTART
	v_dot2_f32_f16 v15, v95, v79, v15
	;;#ASMEND
	;;#ASMSTART
	v_dot2_f32_f16 v15, v96, v80, v15
	;;#ASMEND
	;;#ASMSTART
	v_dot2_f32_f16 v16, v93, v81, v16
	;;#ASMEND
	;;#ASMSTART
	v_dot2_f32_f16 v16, v94, v82, v16
	;;#ASMEND
	;; [unrolled: 3-line block ×12, first 2 shown]
	ds_read_b128 v[73:76], v42 offset:96
	ds_read_b128 v[77:80], v29 offset:224
	;; [unrolled: 1-line block ×6, first 2 shown]
	s_waitcnt lgkmcnt(4)
	;;#ASMSTART
	v_dot2_f32_f16 v11, v73, v77, v11
	;;#ASMEND
	;;#ASMSTART
	v_dot2_f32_f16 v11, v74, v78, v11
	;;#ASMEND
	;;#ASMSTART
	v_dot2_f32_f16 v11, v75, v79, v11
	;;#ASMEND
	;;#ASMSTART
	v_dot2_f32_f16 v11, v76, v80, v11
	;;#ASMEND
	s_waitcnt lgkmcnt(3)
	;;#ASMSTART
	v_dot2_f32_f16 v12, v73, v81, v12
	;;#ASMEND
	;;#ASMSTART
	v_dot2_f32_f16 v12, v74, v82, v12
	;;#ASMEND
	;;#ASMSTART
	v_dot2_f32_f16 v12, v75, v83, v12
	;;#ASMEND
	;;#ASMSTART
	v_dot2_f32_f16 v12, v76, v84, v12
	;;#ASMEND
	;; [unrolled: 13-line block ×5, first 2 shown]
	;;#ASMSTART
	v_dot2_f32_f16 v16, v93, v81, v16
	;;#ASMEND
	;;#ASMSTART
	v_dot2_f32_f16 v16, v94, v82, v16
	;;#ASMEND
	;; [unrolled: 3-line block ×12, first 2 shown]
	ds_read_b128 v[73:76], v42 offset:112
	ds_read_b128 v[77:80], v29 offset:240
	;; [unrolled: 1-line block ×6, first 2 shown]
	s_waitcnt lgkmcnt(4)
	;;#ASMSTART
	v_dot2_f32_f16 v11, v73, v77, v11
	;;#ASMEND
	;;#ASMSTART
	v_dot2_f32_f16 v11, v74, v78, v11
	;;#ASMEND
	;;#ASMSTART
	v_dot2_f32_f16 v11, v75, v79, v11
	;;#ASMEND
	;;#ASMSTART
	v_dot2_f32_f16 v11, v76, v80, v11
	;;#ASMEND
	s_waitcnt lgkmcnt(3)
	;;#ASMSTART
	v_dot2_f32_f16 v12, v73, v81, v12
	;;#ASMEND
	;;#ASMSTART
	v_dot2_f32_f16 v12, v74, v82, v12
	;;#ASMEND
	;;#ASMSTART
	v_dot2_f32_f16 v12, v75, v83, v12
	;;#ASMEND
	;;#ASMSTART
	v_dot2_f32_f16 v12, v76, v84, v12
	;;#ASMEND
	;; [unrolled: 13-line block ×5, first 2 shown]
	;;#ASMSTART
	v_dot2_f32_f16 v16, v93, v81, v16
	;;#ASMEND
	;;#ASMSTART
	v_dot2_f32_f16 v16, v94, v82, v16
	;;#ASMEND
	;; [unrolled: 3-line block ×12, first 2 shown]
	s_barrier
	buffer_gl0_inv
	s_clause 0x1
	global_load_dwordx4 v[73:76], v[9:10], off offset:256
	global_load_dwordx4 v[7:10], v[7:8], off offset:256
	s_waitcnt vmcnt(1)
	ds_write_b128 v40, v[73:76]
	s_waitcnt vmcnt(0)
	ds_write_b128 v41, v[7:10]
	s_waitcnt lgkmcnt(0)
	s_barrier
	buffer_gl0_inv
	ds_read_b128 v[7:10], v42
	ds_read_b128 v[73:76], v29 offset:256
	ds_read_b128 v[77:80], v29 offset:640
	;; [unrolled: 1-line block ×5, first 2 shown]
	s_waitcnt lgkmcnt(4)
	;;#ASMSTART
	v_dot2_f32_f16 v11, v7, v73, v11
	;;#ASMEND
	;;#ASMSTART
	v_dot2_f32_f16 v11, v8, v74, v11
	;;#ASMEND
	;;#ASMSTART
	v_dot2_f32_f16 v11, v9, v75, v11
	;;#ASMEND
	;;#ASMSTART
	v_dot2_f32_f16 v11, v10, v76, v11
	;;#ASMEND
	s_waitcnt lgkmcnt(3)
	;;#ASMSTART
	v_dot2_f32_f16 v12, v7, v77, v12
	;;#ASMEND
	;;#ASMSTART
	v_dot2_f32_f16 v12, v8, v78, v12
	;;#ASMEND
	;;#ASMSTART
	v_dot2_f32_f16 v12, v9, v79, v12
	;;#ASMEND
	;;#ASMSTART
	v_dot2_f32_f16 v12, v10, v80, v12
	;;#ASMEND
	s_waitcnt lgkmcnt(2)
	;;#ASMSTART
	v_dot2_f32_f16 v13, v7, v81, v13
	;;#ASMEND
	;;#ASMSTART
	v_dot2_f32_f16 v13, v8, v82, v13
	;;#ASMEND
	;;#ASMSTART
	v_dot2_f32_f16 v13, v9, v83, v13
	;;#ASMEND
	;;#ASMSTART
	v_dot2_f32_f16 v13, v10, v84, v13
	;;#ASMEND
	s_waitcnt lgkmcnt(1)
	;;#ASMSTART
	v_dot2_f32_f16 v14, v7, v85, v14
	;;#ASMEND
	;;#ASMSTART
	v_dot2_f32_f16 v14, v8, v86, v14
	;;#ASMEND
	;;#ASMSTART
	v_dot2_f32_f16 v14, v9, v87, v14
	;;#ASMEND
	;;#ASMSTART
	v_dot2_f32_f16 v14, v10, v88, v14
	;;#ASMEND
	s_waitcnt lgkmcnt(0)
	;;#ASMSTART
	v_dot2_f32_f16 v15, v89, v73, v15
	;;#ASMEND
	;;#ASMSTART
	v_dot2_f32_f16 v15, v90, v74, v15
	;;#ASMEND
	;;#ASMSTART
	v_dot2_f32_f16 v15, v91, v75, v15
	;;#ASMEND
	;;#ASMSTART
	v_dot2_f32_f16 v15, v92, v76, v15
	;;#ASMEND
	;;#ASMSTART
	v_dot2_f32_f16 v16, v89, v77, v16
	;;#ASMEND
	;;#ASMSTART
	v_dot2_f32_f16 v16, v90, v78, v16
	;;#ASMEND
	;; [unrolled: 3-line block ×12, first 2 shown]
	ds_read_b128 v[7:10], v42 offset:16
	ds_read_b128 v[73:76], v29 offset:272
	;; [unrolled: 1-line block ×6, first 2 shown]
	s_waitcnt lgkmcnt(4)
	;;#ASMSTART
	v_dot2_f32_f16 v11, v7, v73, v11
	;;#ASMEND
	;;#ASMSTART
	v_dot2_f32_f16 v11, v8, v74, v11
	;;#ASMEND
	;;#ASMSTART
	v_dot2_f32_f16 v11, v9, v75, v11
	;;#ASMEND
	;;#ASMSTART
	v_dot2_f32_f16 v11, v10, v76, v11
	;;#ASMEND
	s_waitcnt lgkmcnt(3)
	;;#ASMSTART
	v_dot2_f32_f16 v12, v7, v77, v12
	;;#ASMEND
	;;#ASMSTART
	v_dot2_f32_f16 v12, v8, v78, v12
	;;#ASMEND
	;;#ASMSTART
	v_dot2_f32_f16 v12, v9, v79, v12
	;;#ASMEND
	;;#ASMSTART
	v_dot2_f32_f16 v12, v10, v80, v12
	;;#ASMEND
	;; [unrolled: 13-line block ×5, first 2 shown]
	;;#ASMSTART
	v_dot2_f32_f16 v16, v89, v77, v16
	;;#ASMEND
	;;#ASMSTART
	v_dot2_f32_f16 v16, v90, v78, v16
	;;#ASMEND
	;; [unrolled: 3-line block ×12, first 2 shown]
	ds_read_b128 v[7:10], v42 offset:32
	ds_read_b128 v[73:76], v29 offset:288
	;; [unrolled: 1-line block ×6, first 2 shown]
	s_waitcnt lgkmcnt(4)
	;;#ASMSTART
	v_dot2_f32_f16 v11, v7, v73, v11
	;;#ASMEND
	;;#ASMSTART
	v_dot2_f32_f16 v11, v8, v74, v11
	;;#ASMEND
	;;#ASMSTART
	v_dot2_f32_f16 v11, v9, v75, v11
	;;#ASMEND
	;;#ASMSTART
	v_dot2_f32_f16 v11, v10, v76, v11
	;;#ASMEND
	s_waitcnt lgkmcnt(3)
	;;#ASMSTART
	v_dot2_f32_f16 v12, v7, v77, v12
	;;#ASMEND
	;;#ASMSTART
	v_dot2_f32_f16 v12, v8, v78, v12
	;;#ASMEND
	;;#ASMSTART
	v_dot2_f32_f16 v12, v9, v79, v12
	;;#ASMEND
	;;#ASMSTART
	v_dot2_f32_f16 v12, v10, v80, v12
	;;#ASMEND
	;; [unrolled: 13-line block ×5, first 2 shown]
	;;#ASMSTART
	v_dot2_f32_f16 v16, v89, v77, v16
	;;#ASMEND
	;;#ASMSTART
	v_dot2_f32_f16 v16, v90, v78, v16
	;;#ASMEND
	;; [unrolled: 3-line block ×12, first 2 shown]
	ds_read_b128 v[7:10], v42 offset:48
	ds_read_b128 v[73:76], v29 offset:304
	;; [unrolled: 1-line block ×6, first 2 shown]
	s_waitcnt lgkmcnt(4)
	;;#ASMSTART
	v_dot2_f32_f16 v11, v7, v73, v11
	;;#ASMEND
	;;#ASMSTART
	v_dot2_f32_f16 v11, v8, v74, v11
	;;#ASMEND
	;;#ASMSTART
	v_dot2_f32_f16 v11, v9, v75, v11
	;;#ASMEND
	;;#ASMSTART
	v_dot2_f32_f16 v11, v10, v76, v11
	;;#ASMEND
	s_waitcnt lgkmcnt(3)
	;;#ASMSTART
	v_dot2_f32_f16 v12, v7, v77, v12
	;;#ASMEND
	;;#ASMSTART
	v_dot2_f32_f16 v12, v8, v78, v12
	;;#ASMEND
	;;#ASMSTART
	v_dot2_f32_f16 v12, v9, v79, v12
	;;#ASMEND
	;;#ASMSTART
	v_dot2_f32_f16 v12, v10, v80, v12
	;;#ASMEND
	s_waitcnt lgkmcnt(2)
	;;#ASMSTART
	v_dot2_f32_f16 v13, v7, v81, v13
	;;#ASMEND
	;;#ASMSTART
	v_dot2_f32_f16 v13, v8, v82, v13
	;;#ASMEND
	;;#ASMSTART
	v_dot2_f32_f16 v13, v9, v83, v13
	;;#ASMEND
	;;#ASMSTART
	v_dot2_f32_f16 v13, v10, v84, v13
	;;#ASMEND
	s_waitcnt lgkmcnt(1)
	;;#ASMSTART
	v_dot2_f32_f16 v14, v7, v85, v14
	;;#ASMEND
	;;#ASMSTART
	v_dot2_f32_f16 v14, v8, v86, v14
	;;#ASMEND
	;;#ASMSTART
	v_dot2_f32_f16 v14, v9, v87, v14
	;;#ASMEND
	;;#ASMSTART
	v_dot2_f32_f16 v14, v10, v88, v14
	;;#ASMEND
	s_waitcnt lgkmcnt(0)
	;;#ASMSTART
	v_dot2_f32_f16 v15, v89, v73, v15
	;;#ASMEND
	;;#ASMSTART
	v_dot2_f32_f16 v15, v90, v74, v15
	;;#ASMEND
	;;#ASMSTART
	v_dot2_f32_f16 v15, v91, v75, v15
	;;#ASMEND
	;;#ASMSTART
	v_dot2_f32_f16 v15, v92, v76, v15
	;;#ASMEND
	;;#ASMSTART
	v_dot2_f32_f16 v16, v89, v77, v16
	;;#ASMEND
	;;#ASMSTART
	v_dot2_f32_f16 v16, v90, v78, v16
	;;#ASMEND
	;; [unrolled: 3-line block ×12, first 2 shown]
	ds_read_b128 v[7:10], v42 offset:64
	ds_read_b128 v[73:76], v29 offset:320
	;; [unrolled: 1-line block ×6, first 2 shown]
	s_waitcnt lgkmcnt(4)
	;;#ASMSTART
	v_dot2_f32_f16 v11, v7, v73, v11
	;;#ASMEND
	;;#ASMSTART
	v_dot2_f32_f16 v11, v8, v74, v11
	;;#ASMEND
	;;#ASMSTART
	v_dot2_f32_f16 v11, v9, v75, v11
	;;#ASMEND
	;;#ASMSTART
	v_dot2_f32_f16 v11, v10, v76, v11
	;;#ASMEND
	s_waitcnt lgkmcnt(3)
	;;#ASMSTART
	v_dot2_f32_f16 v12, v7, v77, v12
	;;#ASMEND
	;;#ASMSTART
	v_dot2_f32_f16 v12, v8, v78, v12
	;;#ASMEND
	;;#ASMSTART
	v_dot2_f32_f16 v12, v9, v79, v12
	;;#ASMEND
	;;#ASMSTART
	v_dot2_f32_f16 v12, v10, v80, v12
	;;#ASMEND
	;; [unrolled: 13-line block ×5, first 2 shown]
	;;#ASMSTART
	v_dot2_f32_f16 v16, v89, v77, v16
	;;#ASMEND
	;;#ASMSTART
	v_dot2_f32_f16 v16, v90, v78, v16
	;;#ASMEND
	;; [unrolled: 3-line block ×12, first 2 shown]
	ds_read_b128 v[7:10], v42 offset:80
	ds_read_b128 v[73:76], v29 offset:336
	ds_read_b128 v[77:80], v29 offset:720
	ds_read_b128 v[81:84], v29 offset:1104
	ds_read_b128 v[85:88], v29 offset:1488
	ds_read_b128 v[89:92], v42 offset:4688
	s_waitcnt lgkmcnt(4)
	;;#ASMSTART
	v_dot2_f32_f16 v11, v7, v73, v11
	;;#ASMEND
	;;#ASMSTART
	v_dot2_f32_f16 v11, v8, v74, v11
	;;#ASMEND
	;;#ASMSTART
	v_dot2_f32_f16 v11, v9, v75, v11
	;;#ASMEND
	;;#ASMSTART
	v_dot2_f32_f16 v11, v10, v76, v11
	;;#ASMEND
	s_waitcnt lgkmcnt(3)
	;;#ASMSTART
	v_dot2_f32_f16 v12, v7, v77, v12
	;;#ASMEND
	;;#ASMSTART
	v_dot2_f32_f16 v12, v8, v78, v12
	;;#ASMEND
	;;#ASMSTART
	v_dot2_f32_f16 v12, v9, v79, v12
	;;#ASMEND
	;;#ASMSTART
	v_dot2_f32_f16 v12, v10, v80, v12
	;;#ASMEND
	;; [unrolled: 13-line block ×5, first 2 shown]
	;;#ASMSTART
	v_dot2_f32_f16 v16, v89, v77, v16
	;;#ASMEND
	;;#ASMSTART
	v_dot2_f32_f16 v16, v90, v78, v16
	;;#ASMEND
	;; [unrolled: 3-line block ×12, first 2 shown]
	ds_read_b128 v[7:10], v42 offset:96
	ds_read_b128 v[73:76], v29 offset:352
	;; [unrolled: 1-line block ×6, first 2 shown]
	s_waitcnt lgkmcnt(4)
	;;#ASMSTART
	v_dot2_f32_f16 v11, v7, v73, v11
	;;#ASMEND
	;;#ASMSTART
	v_dot2_f32_f16 v11, v8, v74, v11
	;;#ASMEND
	;;#ASMSTART
	v_dot2_f32_f16 v11, v9, v75, v11
	;;#ASMEND
	;;#ASMSTART
	v_dot2_f32_f16 v11, v10, v76, v11
	;;#ASMEND
	s_waitcnt lgkmcnt(3)
	;;#ASMSTART
	v_dot2_f32_f16 v12, v7, v77, v12
	;;#ASMEND
	;;#ASMSTART
	v_dot2_f32_f16 v12, v8, v78, v12
	;;#ASMEND
	;;#ASMSTART
	v_dot2_f32_f16 v12, v9, v79, v12
	;;#ASMEND
	;;#ASMSTART
	v_dot2_f32_f16 v12, v10, v80, v12
	;;#ASMEND
	;; [unrolled: 13-line block ×5, first 2 shown]
	;;#ASMSTART
	v_dot2_f32_f16 v16, v89, v77, v16
	;;#ASMEND
	;;#ASMSTART
	v_dot2_f32_f16 v16, v90, v78, v16
	;;#ASMEND
	;; [unrolled: 3-line block ×12, first 2 shown]
	ds_read_b128 v[7:10], v42 offset:112
	ds_read_b128 v[73:76], v29 offset:368
	;; [unrolled: 1-line block ×6, first 2 shown]
	s_waitcnt lgkmcnt(4)
	;;#ASMSTART
	v_dot2_f32_f16 v11, v7, v73, v11
	;;#ASMEND
	;;#ASMSTART
	v_dot2_f32_f16 v11, v8, v74, v11
	;;#ASMEND
	;;#ASMSTART
	v_dot2_f32_f16 v11, v9, v75, v11
	;;#ASMEND
	;;#ASMSTART
	v_dot2_f32_f16 v11, v10, v76, v11
	;;#ASMEND
	s_waitcnt lgkmcnt(3)
	;;#ASMSTART
	v_dot2_f32_f16 v12, v7, v77, v12
	;;#ASMEND
	;;#ASMSTART
	v_dot2_f32_f16 v12, v8, v78, v12
	;;#ASMEND
	;;#ASMSTART
	v_dot2_f32_f16 v12, v9, v79, v12
	;;#ASMEND
	;;#ASMSTART
	v_dot2_f32_f16 v12, v10, v80, v12
	;;#ASMEND
	;; [unrolled: 13-line block ×5, first 2 shown]
	;;#ASMSTART
	v_dot2_f32_f16 v16, v89, v77, v16
	;;#ASMEND
	;;#ASMSTART
	v_dot2_f32_f16 v16, v90, v78, v16
	;;#ASMEND
	;; [unrolled: 3-line block ×12, first 2 shown]
	s_clause 0x1
	global_load_ushort v9, v[5:6], off
	global_load_ushort v10, v[5:6], off offset:64
	s_waitcnt vmcnt(0)
	s_barrier
	buffer_gl0_inv
	s_clause 0x1
	global_load_dwordx4 v[5:8], v[3:4], off
	global_load_dwordx4 v[74:77], v[1:2], off
	v_cvt_f32_f16_e32 v1, v9
	v_cvt_f32_f16_e32 v2, v10
	v_add_f32_e32 v9, v11, v1
	v_add_f32_e32 v10, v15, v2
	;; [unrolled: 1-line block ×16, first 2 shown]
	v_max3_f32 v1, v65, v1, v2
	v_max3_f32 v2, v64, v3, v4
	;; [unrolled: 1-line block ×4, first 2 shown]
	ds_bpermute_b32 v66, v72, v1
	ds_bpermute_b32 v67, v72, v2
	ds_bpermute_b32 v73, v72, v3
	ds_bpermute_b32 v72, v72, v4
	s_waitcnt lgkmcnt(3)
	v_max_f32_e32 v66, v66, v66
	s_waitcnt lgkmcnt(2)
	v_max_f32_e32 v67, v67, v67
	s_waitcnt lgkmcnt(1)
	v_max_f32_e32 v73, v73, v73
	s_waitcnt lgkmcnt(0)
	v_max_f32_e32 v72, v72, v72
	v_max_f32_e32 v1, v1, v66
	v_max_f32_e32 v2, v2, v67
	v_max_f32_e32 v3, v3, v73
	v_max_f32_e32 v4, v4, v72
	ds_bpermute_b32 v66, v71, v1
	ds_bpermute_b32 v67, v71, v2
	ds_bpermute_b32 v72, v71, v3
	ds_bpermute_b32 v71, v71, v4
	s_waitcnt lgkmcnt(3)
	v_max_f32_e32 v66, v66, v66
	s_waitcnt lgkmcnt(2)
	v_max_f32_e32 v67, v67, v67
	s_waitcnt lgkmcnt(1)
	v_max_f32_e32 v72, v72, v72
	s_waitcnt lgkmcnt(0)
	v_max_f32_e32 v71, v71, v71
	v_max_f32_e32 v1, v1, v66
	v_max_f32_e32 v2, v2, v67
	v_max_f32_e32 v3, v3, v72
	v_max_f32_e32 v4, v4, v71
	;; [unrolled: 16-line block ×5, first 2 shown]
	v_sub_f32_e32 v9, v9, v1
	v_sub_f32_e32 v10, v10, v1
	;; [unrolled: 1-line block ×8, first 2 shown]
	v_mul_f32_e32 v66, 0x3fb8aa3b, v9
	v_mul_f32_e32 v67, 0x3fb8aa3b, v10
	;; [unrolled: 1-line block ×8, first 2 shown]
	v_fma_f32 v78, 0x3fb8aa3b, v9, -v66
	v_rndne_f32_e32 v79, v66
	v_fma_f32 v80, 0x3fb8aa3b, v10, -v67
	v_rndne_f32_e32 v81, v67
	;; [unrolled: 2-line block ×8, first 2 shown]
	v_fmac_f32_e32 v78, 0x32a5705f, v9
	v_fmac_f32_e32 v80, 0x32a5705f, v10
	;; [unrolled: 1-line block ×6, first 2 shown]
	v_sub_f32_e32 v66, v66, v79
	v_sub_f32_e32 v67, v67, v81
	;; [unrolled: 1-line block ×6, first 2 shown]
	v_fmac_f32_e32 v90, 0x32a5705f, v14
	v_sub_f32_e32 v72, v72, v91
	v_fmac_f32_e32 v92, 0x32a5705f, v16
	v_sub_f32_e32 v73, v73, v93
	v_add_f32_e32 v66, v66, v78
	v_add_f32_e32 v67, v67, v80
	;; [unrolled: 1-line block ×8, first 2 shown]
	v_exp_f32_e32 v68, v68
	v_exp_f32_e32 v69, v69
	;; [unrolled: 1-line block ×8, first 2 shown]
	v_cvt_i32_f32_e32 v79, v79
	v_cvt_i32_f32_e32 v81, v81
	;; [unrolled: 1-line block ×8, first 2 shown]
	v_ldexp_f32 v68, v68, v83
	v_cmp_ngt_f32_e32 vcc_lo, 0xc2ce8ed0, v11
	v_ldexp_f32 v69, v69, v85
	v_cmp_ngt_f32_e64 s0, 0xc2ce8ed0, v12
	v_ldexp_f32 v70, v70, v87
	v_cmp_ngt_f32_e64 s1, 0xc2ce8ed0, v13
	;; [unrolled: 2-line block ×4, first 2 shown]
	v_ldexp_f32 v67, v67, v81
	v_ldexp_f32 v73, v73, v93
	v_cmp_ngt_f32_e64 s6, 0xc2ce8ed0, v16
	v_ldexp_f32 v66, v66, v79
	v_cmp_ngt_f32_e64 s7, 0xc2ce8ed0, v9
	v_cmp_ngt_f32_e64 s8, 0xc2ce8ed0, v10
	v_sub_f32_e32 v62, v62, v4
	v_cndmask_b32_e64 v67, 0, v67, s8
	v_cmp_nlt_f32_e64 s8, 0x42b17218, v10
	v_cndmask_b32_e32 v10, 0, v68, vcc_lo
	v_cmp_nlt_f32_e32 vcc_lo, 0x42b17218, v11
	v_cndmask_b32_e64 v11, 0, v69, s0
	v_cmp_nlt_f32_e64 s0, 0x42b17218, v12
	v_cndmask_b32_e64 v12, 0, v70, s1
	v_cmp_nlt_f32_e64 s1, 0x42b17218, v13
	;; [unrolled: 2-line block ×3, first 2 shown]
	v_cndmask_b32_e64 v15, 0, v66, s7
	v_cndmask_b32_e64 v71, 0, v72, s3
	v_cmp_nlt_f32_e64 s3, 0x42b17218, v14
	v_cndmask_b32_e64 v14, 0, v73, s6
	v_cmp_nlt_f32_e64 s6, 0x42b17218, v16
	v_cmp_nlt_f32_e64 s7, 0x42b17218, v9
	v_cndmask_b32_e64 v72, 0x7f800000, v67, s8
	v_cndmask_b32_e32 v69, 0x7f800000, v10, vcc_lo
	v_cndmask_b32_e64 v73, 0x7f800000, v11, s0
	v_cndmask_b32_e64 v66, 0x7f800000, v12, s1
	;; [unrolled: 1-line block ×6, first 2 shown]
	v_cvt_f16_f32_e32 v11, v72
	v_cvt_f16_f32_e32 v9, v68
	;; [unrolled: 1-line block ×8, first 2 shown]
	v_pack_b32_f16 v9, v9, v12
	v_pack_b32_f16 v10, v10, v13
	v_cmp_ngt_f32_e64 s1, 0xc2ce8ed0, v62
	v_pack_b32_f16 v12, v14, v15
	v_pack_b32_f16 v11, v11, v16
	ds_write2_b64 v47, v[9:10], v[11:12] offset1:32
	s_waitcnt vmcnt(1)
	ds_write_b128 v44, v[5:8]
	s_waitcnt vmcnt(0)
	ds_write_b128 v45, v[74:77]
	s_waitcnt lgkmcnt(0)
	s_barrier
	buffer_gl0_inv
	ds_read_b128 v[13:16], v43
	ds_read_b128 v[9:12], v43 offset:16
	ds_read_b128 v[5:8], v43 offset:32
	;; [unrolled: 1-line block ×5, first 2 shown]
	s_waitcnt lgkmcnt(5)
	v_mul_u32_u24_sdwa v86, v13, v49 dst_sel:DWORD dst_unused:UNUSED_PAD src0_sel:WORD_0 src1_sel:DWORD
	s_waitcnt lgkmcnt(4)
	v_mul_u32_u24_sdwa v90, v9, v49 dst_sel:DWORD dst_unused:UNUSED_PAD src0_sel:WORD_0 src1_sel:DWORD
	;; [unrolled: 2-line block ×3, first 2 shown]
	v_mul_u32_u24_sdwa v99, v5, v49 dst_sel:DWORD dst_unused:UNUSED_PAD src0_sel:WORD_1 src1_sel:DWORD
	v_sub_f32_e32 v5, v65, v1
	v_mul_u32_u24_sdwa v100, v6, v49 dst_sel:DWORD dst_unused:UNUSED_PAD src0_sel:WORD_0 src1_sel:DWORD
	v_mul_u32_u24_sdwa v101, v6, v49 dst_sel:DWORD dst_unused:UNUSED_PAD src0_sel:WORD_1 src1_sel:DWORD
	v_mul_u32_u24_sdwa v102, v7, v49 dst_sel:DWORD dst_unused:UNUSED_PAD src0_sel:WORD_0 src1_sel:DWORD
	v_mul_u32_u24_sdwa v103, v7, v49 dst_sel:DWORD dst_unused:UNUSED_PAD src0_sel:WORD_1 src1_sel:DWORD
	v_mul_f32_e32 v6, 0x3fb8aa3b, v5
	v_mul_u32_u24_sdwa v104, v8, v49 dst_sel:DWORD dst_unused:UNUSED_PAD src0_sel:WORD_0 src1_sel:DWORD
	v_mul_u32_u24_sdwa v105, v8, v49 dst_sel:DWORD dst_unused:UNUSED_PAD src0_sel:WORD_1 src1_sel:DWORD
	v_mul_u32_u24_sdwa v91, v9, v49 dst_sel:DWORD dst_unused:UNUSED_PAD src0_sel:WORD_1 src1_sel:DWORD
	v_mul_u32_u24_sdwa v92, v10, v49 dst_sel:DWORD dst_unused:UNUSED_PAD src0_sel:WORD_0 src1_sel:DWORD
	v_fma_f32 v7, 0x3fb8aa3b, v5, -v6
	v_rndne_f32_e32 v8, v6
	v_mul_u32_u24_sdwa v93, v10, v49 dst_sel:DWORD dst_unused:UNUSED_PAD src0_sel:WORD_1 src1_sel:DWORD
	v_mul_u32_u24_sdwa v94, v11, v49 dst_sel:DWORD dst_unused:UNUSED_PAD src0_sel:WORD_0 src1_sel:DWORD
	v_mul_u32_u24_sdwa v95, v11, v49 dst_sel:DWORD dst_unused:UNUSED_PAD src0_sel:WORD_1 src1_sel:DWORD
	v_fmac_f32_e32 v7, 0x32a5705f, v5
	v_sub_f32_e32 v6, v6, v8
	v_mul_u32_u24_sdwa v96, v12, v49 dst_sel:DWORD dst_unused:UNUSED_PAD src0_sel:WORD_0 src1_sel:DWORD
	v_mul_u32_u24_sdwa v97, v12, v49 dst_sel:DWORD dst_unused:UNUSED_PAD src0_sel:WORD_1 src1_sel:DWORD
	v_cvt_i32_f32_e32 v8, v8
	v_cmp_ngt_f32_e64 s2, 0xc2ce8ed0, v5
	v_add_f32_e32 v6, v6, v7
	v_sub_f32_e32 v7, v64, v2
	v_mul_u32_u24_sdwa v13, v13, v49 dst_sel:DWORD dst_unused:UNUSED_PAD src0_sel:WORD_1 src1_sel:DWORD
	v_mul_u32_u24_sdwa v87, v14, v49 dst_sel:DWORD dst_unused:UNUSED_PAD src0_sel:WORD_0 src1_sel:DWORD
	v_mul_u32_u24_sdwa v14, v14, v49 dst_sel:DWORD dst_unused:UNUSED_PAD src0_sel:WORD_1 src1_sel:DWORD
	v_exp_f32_e32 v6, v6
	v_mul_f32_e32 v9, 0x3fb8aa3b, v7
	v_cmp_ngt_f32_e32 vcc_lo, 0xc2ce8ed0, v7
	v_mul_u32_u24_sdwa v88, v15, v49 dst_sel:DWORD dst_unused:UNUSED_PAD src0_sel:WORD_0 src1_sel:DWORD
	v_mul_u32_u24_sdwa v15, v15, v49 dst_sel:DWORD dst_unused:UNUSED_PAD src0_sel:WORD_1 src1_sel:DWORD
	v_mul_u32_u24_sdwa v89, v16, v49 dst_sel:DWORD dst_unused:UNUSED_PAD src0_sel:WORD_0 src1_sel:DWORD
	v_fma_f32 v10, 0x3fb8aa3b, v7, -v9
	v_rndne_f32_e32 v11, v9
	v_mul_u32_u24_sdwa v16, v16, v49 dst_sel:DWORD dst_unused:UNUSED_PAD src0_sel:WORD_1 src1_sel:DWORD
	s_waitcnt lgkmcnt(2)
	v_mul_u32_u24_sdwa v106, v74, v49 dst_sel:DWORD dst_unused:UNUSED_PAD src0_sel:WORD_0 src1_sel:DWORD
	v_ldexp_f32 v6, v6, v8
	v_fmac_f32_e32 v10, 0x32a5705f, v7
	v_sub_f32_e32 v9, v9, v11
	v_cvt_i32_f32_e32 v8, v11
	v_mul_u32_u24_sdwa v74, v74, v49 dst_sel:DWORD dst_unused:UNUSED_PAD src0_sel:WORD_1 src1_sel:DWORD
	v_cndmask_b32_e64 v6, 0, v6, s2
	v_cmp_nlt_f32_e64 s2, 0x42b17218, v5
	v_add_f32_e32 v9, v9, v10
	v_sub_f32_e32 v10, v63, v3
	v_mul_u32_u24_sdwa v107, v75, v49 dst_sel:DWORD dst_unused:UNUSED_PAD src0_sel:WORD_0 src1_sel:DWORD
	v_mul_u32_u24_sdwa v75, v75, v49 dst_sel:DWORD dst_unused:UNUSED_PAD src0_sel:WORD_1 src1_sel:DWORD
	v_cndmask_b32_e64 v6, 0x7f800000, v6, s2
	v_exp_f32_e32 v9, v9
	v_mul_f32_e32 v12, 0x3fb8aa3b, v10
	v_cmp_ngt_f32_e64 s0, 0xc2ce8ed0, v10
	v_mul_u32_u24_sdwa v108, v76, v49 dst_sel:DWORD dst_unused:UNUSED_PAD src0_sel:WORD_0 src1_sel:DWORD
	v_cvt_f16_f32_e32 v5, v6
	v_mul_u32_u24_sdwa v76, v76, v49 dst_sel:DWORD dst_unused:UNUSED_PAD src0_sel:WORD_1 src1_sel:DWORD
	v_fma_f32 v63, 0x3fb8aa3b, v10, -v12
	v_rndne_f32_e32 v64, v12
	v_mul_u32_u24_sdwa v109, v77, v49 dst_sel:DWORD dst_unused:UNUSED_PAD src0_sel:WORD_0 src1_sel:DWORD
	v_mul_u32_u24_sdwa v5, v5, v49 dst_sel:DWORD dst_unused:UNUSED_PAD src0_sel:WORD_0 src1_sel:DWORD
	v_ldexp_f32 v8, v9, v8
	v_fmac_f32_e32 v63, 0x32a5705f, v10
	v_sub_f32_e32 v12, v12, v64
	v_cvt_i32_f32_e32 v9, v64
	v_pk_mul_f16 v61, v61, v5
	v_cndmask_b32_e32 v8, 0, v8, vcc_lo
	v_cmp_nlt_f32_e32 vcc_lo, 0x42b17218, v7
	v_add_f32_e32 v12, v12, v63
	v_mul_f32_e32 v63, 0x3fb8aa3b, v62
	v_mul_u32_u24_sdwa v77, v77, v49 dst_sel:DWORD dst_unused:UNUSED_PAD src0_sel:WORD_1 src1_sel:DWORD
	s_waitcnt lgkmcnt(1)
	v_mul_u32_u24_sdwa v111, v79, v49 dst_sel:DWORD dst_unused:UNUSED_PAD src0_sel:WORD_0 src1_sel:DWORD
	v_mul_u32_u24_sdwa v79, v79, v49 dst_sel:DWORD dst_unused:UNUSED_PAD src0_sel:WORD_1 src1_sel:DWORD
	v_exp_f32_e32 v11, v12
	v_fma_f32 v65, 0x3fb8aa3b, v62, -v63
	v_rndne_f32_e32 v118, v63
	v_mul_u32_u24_sdwa v110, v78, v49 dst_sel:DWORD dst_unused:UNUSED_PAD src0_sel:WORD_0 src1_sel:DWORD
	v_mul_u32_u24_sdwa v78, v78, v49 dst_sel:DWORD dst_unused:UNUSED_PAD src0_sel:WORD_1 src1_sel:DWORD
	v_mul_u32_u24_sdwa v113, v81, v49 dst_sel:DWORD dst_unused:UNUSED_PAD src0_sel:WORD_0 src1_sel:DWORD
	v_fmac_f32_e32 v65, 0x32a5705f, v62
	v_sub_f32_e32 v63, v63, v118
	v_mul_u32_u24_sdwa v81, v81, v49 dst_sel:DWORD dst_unused:UNUSED_PAD src0_sel:WORD_1 src1_sel:DWORD
	v_mul_u32_u24_sdwa v112, v80, v49 dst_sel:DWORD dst_unused:UNUSED_PAD src0_sel:WORD_0 src1_sel:DWORD
	v_ldexp_f32 v9, v11, v9
	v_cvt_i32_f32_e32 v11, v118
	v_add_f32_e32 v63, v63, v65
	v_mul_u32_u24_sdwa v80, v80, v49 dst_sel:DWORD dst_unused:UNUSED_PAD src0_sel:WORD_1 src1_sel:DWORD
	s_waitcnt lgkmcnt(0)
	v_mul_u32_u24_sdwa v114, v82, v49 dst_sel:DWORD dst_unused:UNUSED_PAD src0_sel:WORD_0 src1_sel:DWORD
	v_mul_u32_u24_sdwa v82, v82, v49 dst_sel:DWORD dst_unused:UNUSED_PAD src0_sel:WORD_1 src1_sel:DWORD
	v_mul_u32_u24_sdwa v115, v83, v49 dst_sel:DWORD dst_unused:UNUSED_PAD src0_sel:WORD_0 src1_sel:DWORD
	v_exp_f32_e32 v12, v63
	v_cndmask_b32_e64 v63, 0, v9, s0
	v_cmp_nlt_f32_e64 s0, 0x42b17218, v10
	v_mul_u32_u24_sdwa v83, v83, v49 dst_sel:DWORD dst_unused:UNUSED_PAD src0_sel:WORD_1 src1_sel:DWORD
	v_mul_u32_u24_sdwa v116, v84, v49 dst_sel:DWORD dst_unused:UNUSED_PAD src0_sel:WORD_0 src1_sel:DWORD
	v_mul_u32_u24_sdwa v84, v84, v49 dst_sel:DWORD dst_unused:UNUSED_PAD src0_sel:WORD_1 src1_sel:DWORD
	v_mul_u32_u24_sdwa v117, v85, v49 dst_sel:DWORD dst_unused:UNUSED_PAD src0_sel:WORD_0 src1_sel:DWORD
	v_mul_u32_u24_sdwa v85, v85, v49 dst_sel:DWORD dst_unused:UNUSED_PAD src0_sel:WORD_1 src1_sel:DWORD
	v_ldexp_f32 v11, v12, v11
	v_cndmask_b32_e64 v7, 0, v11, s1
	ds_read2_b64 v[9:12], v50 offset1:32
	v_cmp_nlt_f32_e64 s1, 0x42b17218, v62
	s_waitcnt lgkmcnt(0)
	v_pk_mul_f16 v62, v9, v86
	v_pk_fma_f16 v60, v60, v5, v62
	v_cndmask_b32_e64 v5, 0x7f800000, v7, s1
	v_pk_mul_f16 v62, v9, v13
	v_pk_fma_f16 v60, v11, v88, v60
	v_cvt_f16_f32_e32 v7, v5
	v_mul_u32_u24_sdwa v7, v7, v49 dst_sel:DWORD dst_unused:UNUSED_PAD src0_sel:WORD_0 src1_sel:DWORD
	v_pk_mul_f16 v55, v55, v7
	v_pk_mul_f16 v54, v54, v7
	v_cndmask_b32_e32 v7, 0x7f800000, v8, vcc_lo
	v_cvt_f16_f32_e32 v8, v7
	v_mul_u32_u24_sdwa v8, v8, v49 dst_sel:DWORD dst_unused:UNUSED_PAD src0_sel:WORD_0 src1_sel:DWORD
	v_pk_fma_f16 v59, v59, v8, v62
	v_pk_mul_f16 v58, v58, v8
	v_cndmask_b32_e64 v8, 0x7f800000, v63, s0
	v_pk_mul_f16 v63, v9, v87
	v_pk_fma_f16 v9, v9, v14, v55
	v_pk_fma_f16 v14, v10, v14, v54
	;; [unrolled: 1-line block ×3, first 2 shown]
	v_cvt_f16_f32_e32 v62, v8
	v_pk_fma_f16 v54, v10, v86, v61
	v_pk_fma_f16 v55, v11, v16, v9
	;; [unrolled: 1-line block ×4, first 2 shown]
	v_mul_u32_u24_sdwa v62, v62, v49 dst_sel:DWORD dst_unused:UNUSED_PAD src0_sel:WORD_0 src1_sel:DWORD
	v_pk_fma_f16 v54, v12, v88, v54
	s_or_b32 s0, s9, 32
	s_mul_hi_i32 s1, s0, s14
	v_pk_mul_f16 v56, v56, v62
	v_pk_fma_f16 v57, v57, v62, v63
	s_mul_i32 s0, s0, s14
	s_lshl_b64 s[0:1], s[0:1], 2
	v_pk_fma_f16 v10, v10, v87, v56
	v_pk_fma_f16 v56, v12, v16, v14
	ds_read_b128 v[13:16], v43 offset:96
	v_pk_fma_f16 v57, v11, v89, v57
	s_add_u32 s0, s12, s0
	v_pk_fma_f16 v61, v12, v89, v10
	ds_read_b128 v[9:12], v43 offset:112
	s_addc_u32 s1, s13, s1
	s_waitcnt lgkmcnt(1)
	v_mul_u32_u24_sdwa v62, v13, v49 dst_sel:DWORD dst_unused:UNUSED_PAD src0_sel:WORD_0 src1_sel:DWORD
	v_mul_u32_u24_sdwa v63, v13, v49 dst_sel:DWORD dst_unused:UNUSED_PAD src0_sel:WORD_1 src1_sel:DWORD
	v_mul_u32_u24_sdwa v64, v14, v49 dst_sel:DWORD dst_unused:UNUSED_PAD src0_sel:WORD_0 src1_sel:DWORD
	v_mul_u32_u24_sdwa v65, v14, v49 dst_sel:DWORD dst_unused:UNUSED_PAD src0_sel:WORD_1 src1_sel:DWORD
	;; [unrolled: 2-line block ×4, first 2 shown]
	ds_read2_b64 v[13:16], v50 offset0:64 offset1:96
	s_waitcnt lgkmcnt(0)
	v_pk_fma_f16 v54, v14, v90, v54
	v_pk_fma_f16 v60, v13, v90, v60
	;; [unrolled: 1-line block ×12, first 2 shown]
	v_mul_u32_u24_sdwa v60, v9, v49 dst_sel:DWORD dst_unused:UNUSED_PAD src0_sel:WORD_0 src1_sel:DWORD
	v_mul_u32_u24_sdwa v61, v9, v49 dst_sel:DWORD dst_unused:UNUSED_PAD src0_sel:WORD_1 src1_sel:DWORD
	v_mul_u32_u24_sdwa v90, v10, v49 dst_sel:DWORD dst_unused:UNUSED_PAD src0_sel:WORD_0 src1_sel:DWORD
	v_mul_u32_u24_sdwa v91, v10, v49 dst_sel:DWORD dst_unused:UNUSED_PAD src0_sel:WORD_1 src1_sel:DWORD
	;; [unrolled: 2-line block ×4, first 2 shown]
	ds_read2_b64 v[9:12], v50 offset0:128 offset1:160
	v_pk_fma_f16 v55, v15, v97, v55
	v_pk_fma_f16 v56, v16, v97, v56
	;; [unrolled: 1-line block ×4, first 2 shown]
	s_waitcnt lgkmcnt(0)
	v_pk_fma_f16 v15, v9, v101, v55
	v_pk_fma_f16 v16, v10, v101, v56
	;; [unrolled: 1-line block ×10, first 2 shown]
	ds_read_b128 v[13:16], v43 offset:128
	v_pk_fma_f16 v54, v12, v102, v54
	v_pk_fma_f16 v56, v12, v103, v56
	;; [unrolled: 1-line block ×6, first 2 shown]
	ds_read_b128 v[9:12], v43 offset:144
	s_waitcnt lgkmcnt(1)
	v_mul_u32_u24_sdwa v98, v13, v49 dst_sel:DWORD dst_unused:UNUSED_PAD src0_sel:WORD_0 src1_sel:DWORD
	v_mul_u32_u24_sdwa v99, v13, v49 dst_sel:DWORD dst_unused:UNUSED_PAD src0_sel:WORD_1 src1_sel:DWORD
	v_mul_u32_u24_sdwa v100, v14, v49 dst_sel:DWORD dst_unused:UNUSED_PAD src0_sel:WORD_0 src1_sel:DWORD
	v_mul_u32_u24_sdwa v101, v14, v49 dst_sel:DWORD dst_unused:UNUSED_PAD src0_sel:WORD_1 src1_sel:DWORD
	;; [unrolled: 2-line block ×4, first 2 shown]
	ds_read2_b64 v[13:16], v50 offset0:192 offset1:224
	s_waitcnt lgkmcnt(0)
	v_pk_fma_f16 v58, v13, v75, v58
	v_pk_fma_f16 v59, v14, v75, v59
	;; [unrolled: 1-line block ×12, first 2 shown]
	v_mul_u32_u24_sdwa v74, v9, v49 dst_sel:DWORD dst_unused:UNUSED_PAD src0_sel:WORD_0 src1_sel:DWORD
	v_mul_u32_u24_sdwa v75, v9, v49 dst_sel:DWORD dst_unused:UNUSED_PAD src0_sel:WORD_1 src1_sel:DWORD
	v_mul_u32_u24_sdwa v76, v10, v49 dst_sel:DWORD dst_unused:UNUSED_PAD src0_sel:WORD_0 src1_sel:DWORD
	v_mul_u32_u24_sdwa v77, v10, v49 dst_sel:DWORD dst_unused:UNUSED_PAD src0_sel:WORD_1 src1_sel:DWORD
	;; [unrolled: 2-line block ×4, first 2 shown]
	ds_read2_b64 v[9:12], v51 offset1:32
	v_pk_fma_f16 v54, v16, v108, v54
	v_pk_fma_f16 v55, v15, v108, v55
	;; [unrolled: 1-line block ×4, first 2 shown]
	s_waitcnt lgkmcnt(0)
	v_pk_fma_f16 v15, v9, v79, v58
	v_pk_fma_f16 v16, v10, v79, v59
	;; [unrolled: 1-line block ×10, first 2 shown]
	ds_read_b128 v[13:16], v43 offset:160
	v_pk_fma_f16 v54, v12, v112, v54
	v_pk_fma_f16 v56, v12, v80, v56
	;; [unrolled: 1-line block ×6, first 2 shown]
	ds_read_b128 v[9:12], v43 offset:176
	s_waitcnt lgkmcnt(1)
	v_mul_u32_u24_sdwa v80, v13, v49 dst_sel:DWORD dst_unused:UNUSED_PAD src0_sel:WORD_0 src1_sel:DWORD
	v_mul_u32_u24_sdwa v81, v13, v49 dst_sel:DWORD dst_unused:UNUSED_PAD src0_sel:WORD_1 src1_sel:DWORD
	v_mul_u32_u24_sdwa v108, v14, v49 dst_sel:DWORD dst_unused:UNUSED_PAD src0_sel:WORD_0 src1_sel:DWORD
	v_mul_u32_u24_sdwa v109, v14, v49 dst_sel:DWORD dst_unused:UNUSED_PAD src0_sel:WORD_1 src1_sel:DWORD
	;; [unrolled: 2-line block ×4, first 2 shown]
	ds_read2_b64 v[13:16], v51 offset0:64 offset1:96
	s_waitcnt lgkmcnt(0)
	v_pk_fma_f16 v58, v13, v83, v58
	v_pk_fma_f16 v59, v14, v83, v59
	;; [unrolled: 1-line block ×12, first 2 shown]
	v_mul_u32_u24_sdwa v78, v9, v49 dst_sel:DWORD dst_unused:UNUSED_PAD src0_sel:WORD_0 src1_sel:DWORD
	v_mul_u32_u24_sdwa v79, v9, v49 dst_sel:DWORD dst_unused:UNUSED_PAD src0_sel:WORD_1 src1_sel:DWORD
	v_mul_u32_u24_sdwa v82, v10, v49 dst_sel:DWORD dst_unused:UNUSED_PAD src0_sel:WORD_0 src1_sel:DWORD
	v_mul_u32_u24_sdwa v83, v10, v49 dst_sel:DWORD dst_unused:UNUSED_PAD src0_sel:WORD_1 src1_sel:DWORD
	;; [unrolled: 2-line block ×4, first 2 shown]
	ds_read2_b64 v[9:12], v51 offset0:128 offset1:160
	v_pk_fma_f16 v54, v16, v116, v54
	v_pk_fma_f16 v55, v15, v116, v55
	;; [unrolled: 1-line block ×4, first 2 shown]
	s_waitcnt lgkmcnt(0)
	v_pk_fma_f16 v15, v9, v65, v58
	v_pk_fma_f16 v16, v10, v65, v59
	;; [unrolled: 1-line block ×10, first 2 shown]
	ds_read_b128 v[13:16], v43 offset:192
	v_pk_fma_f16 v54, v12, v86, v54
	v_pk_fma_f16 v56, v12, v87, v56
	v_pk_fma_f16 v55, v11, v86, v55
	v_pk_fma_f16 v57, v11, v87, v57
	v_pk_fma_f16 v62, v12, v88, v10
	v_pk_fma_f16 v63, v11, v88, v9
	ds_read_b128 v[9:12], v43 offset:208
	s_waitcnt lgkmcnt(1)
	v_mul_u32_u24_sdwa v64, v13, v49 dst_sel:DWORD dst_unused:UNUSED_PAD src0_sel:WORD_0 src1_sel:DWORD
	v_mul_u32_u24_sdwa v65, v13, v49 dst_sel:DWORD dst_unused:UNUSED_PAD src0_sel:WORD_1 src1_sel:DWORD
	v_mul_u32_u24_sdwa v86, v14, v49 dst_sel:DWORD dst_unused:UNUSED_PAD src0_sel:WORD_0 src1_sel:DWORD
	v_mul_u32_u24_sdwa v87, v14, v49 dst_sel:DWORD dst_unused:UNUSED_PAD src0_sel:WORD_1 src1_sel:DWORD
	;; [unrolled: 2-line block ×4, first 2 shown]
	ds_read2_b64 v[13:16], v51 offset0:192 offset1:224
	s_waitcnt lgkmcnt(1)
	v_mul_u32_u24_sdwa v118, v12, v49 dst_sel:DWORD dst_unused:UNUSED_PAD src0_sel:WORD_0 src1_sel:DWORD
	v_mul_u32_u24_sdwa v119, v12, v49 dst_sel:DWORD dst_unused:UNUSED_PAD src0_sel:WORD_1 src1_sel:DWORD
	s_waitcnt lgkmcnt(0)
	v_pk_fma_f16 v58, v13, v91, v58
	v_pk_fma_f16 v59, v14, v91, v59
	;; [unrolled: 1-line block ×16, first 2 shown]
	v_mul_u32_u24_sdwa v90, v9, v49 dst_sel:DWORD dst_unused:UNUSED_PAD src0_sel:WORD_0 src1_sel:DWORD
	v_mul_u32_u24_sdwa v91, v9, v49 dst_sel:DWORD dst_unused:UNUSED_PAD src0_sel:WORD_1 src1_sel:DWORD
	v_mul_u32_u24_sdwa v92, v10, v49 dst_sel:DWORD dst_unused:UNUSED_PAD src0_sel:WORD_0 src1_sel:DWORD
	v_mul_u32_u24_sdwa v93, v10, v49 dst_sel:DWORD dst_unused:UNUSED_PAD src0_sel:WORD_1 src1_sel:DWORD
	;; [unrolled: 2-line block ×3, first 2 shown]
	ds_read2_b64 v[9:12], v52 offset1:32
	s_waitcnt lgkmcnt(0)
	v_pk_fma_f16 v15, v9, v101, v58
	v_pk_fma_f16 v16, v10, v101, v59
	;; [unrolled: 1-line block ×10, first 2 shown]
	ds_read_b128 v[13:16], v43 offset:224
	v_pk_fma_f16 v54, v12, v102, v54
	v_pk_fma_f16 v56, v12, v103, v56
	;; [unrolled: 1-line block ×6, first 2 shown]
	ds_read_b128 v[9:12], v43 offset:240
	s_waitcnt lgkmcnt(1)
	v_mul_u32_u24_sdwa v98, v13, v49 dst_sel:DWORD dst_unused:UNUSED_PAD src0_sel:WORD_0 src1_sel:DWORD
	v_mul_u32_u24_sdwa v99, v13, v49 dst_sel:DWORD dst_unused:UNUSED_PAD src0_sel:WORD_1 src1_sel:DWORD
	v_mul_u32_u24_sdwa v100, v14, v49 dst_sel:DWORD dst_unused:UNUSED_PAD src0_sel:WORD_0 src1_sel:DWORD
	v_mul_u32_u24_sdwa v101, v14, v49 dst_sel:DWORD dst_unused:UNUSED_PAD src0_sel:WORD_1 src1_sel:DWORD
	;; [unrolled: 2-line block ×4, first 2 shown]
	ds_read2_b64 v[13:16], v52 offset0:64 offset1:96
	s_waitcnt lgkmcnt(1)
	v_mul_u32_u24_sdwa v120, v11, v49 dst_sel:DWORD dst_unused:UNUSED_PAD src0_sel:WORD_0 src1_sel:DWORD
	v_mul_u32_u24_sdwa v121, v11, v49 dst_sel:DWORD dst_unused:UNUSED_PAD src0_sel:WORD_1 src1_sel:DWORD
	v_mul_u32_u24_sdwa v122, v12, v49 dst_sel:DWORD dst_unused:UNUSED_PAD src0_sel:WORD_0 src1_sel:DWORD
	v_mul_u32_u24_sdwa v123, v12, v49 dst_sel:DWORD dst_unused:UNUSED_PAD src0_sel:WORD_1 src1_sel:DWORD
	s_waitcnt lgkmcnt(0)
	v_pk_fma_f16 v54, v14, v74, v54
	v_pk_fma_f16 v55, v13, v74, v55
	;; [unrolled: 1-line block ×12, first 2 shown]
	v_mul_u32_u24_sdwa v96, v9, v49 dst_sel:DWORD dst_unused:UNUSED_PAD src0_sel:WORD_0 src1_sel:DWORD
	v_mul_u32_u24_sdwa v97, v9, v49 dst_sel:DWORD dst_unused:UNUSED_PAD src0_sel:WORD_1 src1_sel:DWORD
	v_add_co_u32 v9, vcc_lo, s0, v23
	v_pk_fma_f16 v58, v15, v107, v58
	v_pk_fma_f16 v59, v16, v107, v59
	;; [unrolled: 1-line block ×4, first 2 shown]
	v_mul_u32_u24_sdwa v106, v10, v49 dst_sel:DWORD dst_unused:UNUSED_PAD src0_sel:WORD_0 src1_sel:DWORD
	v_mul_u32_u24_sdwa v107, v10, v49 dst_sel:DWORD dst_unused:UNUSED_PAD src0_sel:WORD_1 src1_sel:DWORD
	v_add_co_ci_u32_e64 v10, null, s1, v24, vcc_lo
	v_add_co_u32 v62, vcc_lo, v9, v48
	v_add_co_ci_u32_e64 v63, null, 0, v10, vcc_lo
	v_add_co_u32 v9, vcc_lo, s0, v25
	;; [unrolled: 2-line block ×3, first 2 shown]
	v_add_co_ci_u32_e64 v75, null, 0, v10, vcc_lo
	ds_read2_b64 v[9:12], v52 offset0:128 offset1:160
	s_waitcnt lgkmcnt(0)
	v_pk_fma_f16 v15, v9, v109, v58
	v_pk_fma_f16 v16, v10, v109, v59
	;; [unrolled: 1-line block ×16, first 2 shown]
	ds_read2_b64 v[9:12], v52 offset0:192 offset1:224
	s_waitcnt lgkmcnt(0)
	v_pk_fma_f16 v58, v9, v83, v13
	v_pk_fma_f16 v59, v10, v83, v14
	;; [unrolled: 1-line block ×4, first 2 shown]
	ds_read2_b64 v[13:16], v53 offset1:32
	v_pk_fma_f16 v54, v10, v79, v54
	v_pk_fma_f16 v55, v9, v79, v55
	;; [unrolled: 1-line block ×12, first 2 shown]
	ds_read2_b64 v[54:57], v53 offset0:64 offset1:96
	ds_read2_b64 v[9:12], v53 offset0:128 offset1:160
	s_waitcnt lgkmcnt(2)
	v_pk_fma_f16 v80, v13, v87, v58
	v_pk_fma_f16 v81, v14, v87, v59
	v_pk_fma_f16 v82, v14, v64, v60
	v_pk_fma_f16 v76, v14, v65, v76
	v_pk_fma_f16 v83, v13, v64, v61
	v_pk_fma_f16 v77, v13, v65, v77
	ds_read2_b64 v[58:61], v53 offset0:192 offset1:224
	s_waitcnt lgkmcnt(0)
	s_barrier
	buffer_gl0_inv
	global_load_dwordx4 v[62:65], v[62:63], off
	v_pk_fma_f16 v14, v14, v86, v78
	v_pk_fma_f16 v13, v13, v86, v79
	;; [unrolled: 1-line block ×8, first 2 shown]
	global_load_dwordx4 v[74:77], v[74:75], off
	v_pk_fma_f16 v14, v16, v116, v14
	v_pk_fma_f16 v13, v15, v116, v13
	;; [unrolled: 1-line block ×50, first 2 shown]
	s_waitcnt vmcnt(1)
	ds_write_b128 v44, v[62:65]
	s_waitcnt vmcnt(0)
	ds_write_b128 v45, v[74:77]
	s_waitcnt lgkmcnt(0)
	s_barrier
	buffer_gl0_inv
	ds_read_b128 v[9:12], v43 offset:256
	ds_read_b128 v[13:16], v43 offset:272
	;; [unrolled: 1-line block ×6, first 2 shown]
	s_waitcnt lgkmcnt(5)
	v_mul_u32_u24_sdwa v86, v9, v49 dst_sel:DWORD dst_unused:UNUSED_PAD src0_sel:WORD_0 src1_sel:DWORD
	v_mul_u32_u24_sdwa v87, v9, v49 dst_sel:DWORD dst_unused:UNUSED_PAD src0_sel:WORD_1 src1_sel:DWORD
	v_mul_u32_u24_sdwa v88, v10, v49 dst_sel:DWORD dst_unused:UNUSED_PAD src0_sel:WORD_0 src1_sel:DWORD
	v_mul_u32_u24_sdwa v89, v10, v49 dst_sel:DWORD dst_unused:UNUSED_PAD src0_sel:WORD_1 src1_sel:DWORD
	;; [unrolled: 2-line block ×4, first 2 shown]
	ds_read2_b64 v[9:12], v50 offset1:32
	s_waitcnt lgkmcnt(5)
	v_mul_u32_u24_sdwa v94, v13, v49 dst_sel:DWORD dst_unused:UNUSED_PAD src0_sel:WORD_0 src1_sel:DWORD
	v_mul_u32_u24_sdwa v95, v13, v49 dst_sel:DWORD dst_unused:UNUSED_PAD src0_sel:WORD_1 src1_sel:DWORD
	v_mul_u32_u24_sdwa v96, v14, v49 dst_sel:DWORD dst_unused:UNUSED_PAD src0_sel:WORD_0 src1_sel:DWORD
	v_mul_u32_u24_sdwa v97, v14, v49 dst_sel:DWORD dst_unused:UNUSED_PAD src0_sel:WORD_1 src1_sel:DWORD
	;; [unrolled: 2-line block ×4, first 2 shown]
	s_waitcnt lgkmcnt(4)
	v_mul_u32_u24_sdwa v102, v54, v49 dst_sel:DWORD dst_unused:UNUSED_PAD src0_sel:WORD_0 src1_sel:DWORD
	v_mul_u32_u24_sdwa v103, v54, v49 dst_sel:DWORD dst_unused:UNUSED_PAD src0_sel:WORD_1 src1_sel:DWORD
	v_mul_u32_u24_sdwa v104, v55, v49 dst_sel:DWORD dst_unused:UNUSED_PAD src0_sel:WORD_0 src1_sel:DWORD
	v_mul_u32_u24_sdwa v105, v55, v49 dst_sel:DWORD dst_unused:UNUSED_PAD src0_sel:WORD_1 src1_sel:DWORD
	s_waitcnt lgkmcnt(3)
	v_mul_u32_u24_sdwa v110, v58, v49 dst_sel:DWORD dst_unused:UNUSED_PAD src0_sel:WORD_0 src1_sel:DWORD
	v_mul_u32_u24_sdwa v111, v58, v49 dst_sel:DWORD dst_unused:UNUSED_PAD src0_sel:WORD_1 src1_sel:DWORD
	v_mul_u32_u24_sdwa v112, v59, v49 dst_sel:DWORD dst_unused:UNUSED_PAD src0_sel:WORD_0 src1_sel:DWORD
	v_mul_u32_u24_sdwa v113, v59, v49 dst_sel:DWORD dst_unused:UNUSED_PAD src0_sel:WORD_1 src1_sel:DWORD
	;; [unrolled: 2-line block ×3, first 2 shown]
	v_mul_u32_u24_sdwa v116, v61, v49 dst_sel:DWORD dst_unused:UNUSED_PAD src0_sel:WORD_0 src1_sel:DWORD
	s_waitcnt lgkmcnt(0)
	v_pk_fma_f16 v13, v9, v86, v83
	v_pk_fma_f16 v14, v10, v86, v79
	;; [unrolled: 1-line block ×8, first 2 shown]
	v_mul_u32_u24_sdwa v117, v61, v49 dst_sel:DWORD dst_unused:UNUSED_PAD src0_sel:WORD_1 src1_sel:DWORD
	v_pk_fma_f16 v58, v11, v90, v13
	v_pk_fma_f16 v59, v11, v91, v15
	;; [unrolled: 1-line block ×6, first 2 shown]
	ds_read_b128 v[13:16], v43 offset:352
	v_pk_fma_f16 v80, v11, v93, v9
	v_pk_fma_f16 v81, v12, v93, v10
	ds_read2_b64 v[9:12], v50 offset0:64 offset1:96
	v_mul_u32_u24_sdwa v106, v56, v49 dst_sel:DWORD dst_unused:UNUSED_PAD src0_sel:WORD_0 src1_sel:DWORD
	v_mul_u32_u24_sdwa v107, v56, v49 dst_sel:DWORD dst_unused:UNUSED_PAD src0_sel:WORD_1 src1_sel:DWORD
	v_mul_u32_u24_sdwa v108, v57, v49 dst_sel:DWORD dst_unused:UNUSED_PAD src0_sel:WORD_0 src1_sel:DWORD
	v_mul_u32_u24_sdwa v109, v57, v49 dst_sel:DWORD dst_unused:UNUSED_PAD src0_sel:WORD_1 src1_sel:DWORD
	ds_read_b128 v[54:57], v43 offset:368
	v_mul_u32_u24_sdwa v118, v62, v49 dst_sel:DWORD dst_unused:UNUSED_PAD src0_sel:WORD_0 src1_sel:DWORD
	v_mul_u32_u24_sdwa v62, v62, v49 dst_sel:DWORD dst_unused:UNUSED_PAD src0_sel:WORD_1 src1_sel:DWORD
	v_mul_u32_u24_sdwa v119, v63, v49 dst_sel:DWORD dst_unused:UNUSED_PAD src0_sel:WORD_0 src1_sel:DWORD
	v_mul_u32_u24_sdwa v63, v63, v49 dst_sel:DWORD dst_unused:UNUSED_PAD src0_sel:WORD_1 src1_sel:DWORD
	;; [unrolled: 2-line block ×5, first 2 shown]
	v_mul_u32_u24_sdwa v123, v75, v49 dst_sel:DWORD dst_unused:UNUSED_PAD src0_sel:WORD_0 src1_sel:DWORD
	s_waitcnt lgkmcnt(2)
	v_mul_u32_u24_sdwa v82, v13, v49 dst_sel:DWORD dst_unused:UNUSED_PAD src0_sel:WORD_0 src1_sel:DWORD
	v_mul_u32_u24_sdwa v83, v13, v49 dst_sel:DWORD dst_unused:UNUSED_PAD src0_sel:WORD_1 src1_sel:DWORD
	v_mul_u32_u24_sdwa v84, v14, v49 dst_sel:DWORD dst_unused:UNUSED_PAD src0_sel:WORD_0 src1_sel:DWORD
	v_mul_u32_u24_sdwa v85, v14, v49 dst_sel:DWORD dst_unused:UNUSED_PAD src0_sel:WORD_1 src1_sel:DWORD
	;; [unrolled: 2-line block ×4, first 2 shown]
	s_waitcnt lgkmcnt(1)
	v_pk_fma_f16 v13, v9, v94, v58
	v_pk_fma_f16 v14, v10, v94, v60
	;; [unrolled: 1-line block ×16, first 2 shown]
	s_waitcnt lgkmcnt(0)
	v_mul_u32_u24_sdwa v9, v54, v49 dst_sel:DWORD dst_unused:UNUSED_PAD src0_sel:WORD_0 src1_sel:DWORD
	v_mul_u32_u24_sdwa v16, v54, v49 dst_sel:DWORD dst_unused:UNUSED_PAD src0_sel:WORD_1 src1_sel:DWORD
	v_mul_u32_u24_sdwa v15, v55, v49 dst_sel:DWORD dst_unused:UNUSED_PAD src0_sel:WORD_0 src1_sel:DWORD
	v_mul_u32_u24_sdwa v14, v55, v49 dst_sel:DWORD dst_unused:UNUSED_PAD src0_sel:WORD_1 src1_sel:DWORD
	;; [unrolled: 2-line block ×4, first 2 shown]
	ds_read2_b64 v[54:57], v50 offset0:128 offset1:160
	v_mul_u32_u24_sdwa v75, v75, v49 dst_sel:DWORD dst_unused:UNUSED_PAD src0_sel:WORD_1 src1_sel:DWORD
	v_mul_u32_u24_sdwa v124, v76, v49 dst_sel:DWORD dst_unused:UNUSED_PAD src0_sel:WORD_0 src1_sel:DWORD
	v_mul_u32_u24_sdwa v76, v76, v49 dst_sel:DWORD dst_unused:UNUSED_PAD src0_sel:WORD_1 src1_sel:DWORD
	v_mul_u32_u24_sdwa v125, v77, v49 dst_sel:DWORD dst_unused:UNUSED_PAD src0_sel:WORD_0 src1_sel:DWORD
	v_mul_u32_u24_sdwa v77, v77, v49 dst_sel:DWORD dst_unused:UNUSED_PAD src0_sel:WORD_1 src1_sel:DWORD
	s_waitcnt lgkmcnt(0)
	v_pk_fma_f16 v60, v54, v102, v60
	v_pk_fma_f16 v61, v55, v102, v61
	;; [unrolled: 1-line block ×12, first 2 shown]
	ds_read_b128 v[58:61], v43 offset:384
	v_pk_fma_f16 v78, v56, v107, v78
	v_pk_fma_f16 v79, v57, v107, v79
	;; [unrolled: 1-line block ×4, first 2 shown]
	ds_read_b128 v[54:57], v43 offset:400
	s_waitcnt lgkmcnt(1)
	v_mul_u32_u24_sdwa v94, v58, v49 dst_sel:DWORD dst_unused:UNUSED_PAD src0_sel:WORD_0 src1_sel:DWORD
	v_mul_u32_u24_sdwa v95, v58, v49 dst_sel:DWORD dst_unused:UNUSED_PAD src0_sel:WORD_1 src1_sel:DWORD
	v_mul_u32_u24_sdwa v96, v59, v49 dst_sel:DWORD dst_unused:UNUSED_PAD src0_sel:WORD_0 src1_sel:DWORD
	v_mul_u32_u24_sdwa v97, v59, v49 dst_sel:DWORD dst_unused:UNUSED_PAD src0_sel:WORD_1 src1_sel:DWORD
	;; [unrolled: 2-line block ×4, first 2 shown]
	ds_read2_b64 v[58:61], v50 offset0:192 offset1:224
	s_waitcnt lgkmcnt(1)
	v_mul_u32_u24_sdwa v102, v55, v49 dst_sel:DWORD dst_unused:UNUSED_PAD src0_sel:WORD_0 src1_sel:DWORD
	v_mul_u32_u24_sdwa v103, v55, v49 dst_sel:DWORD dst_unused:UNUSED_PAD src0_sel:WORD_1 src1_sel:DWORD
	v_mul_u32_u24_sdwa v104, v56, v49 dst_sel:DWORD dst_unused:UNUSED_PAD src0_sel:WORD_0 src1_sel:DWORD
	v_mul_u32_u24_sdwa v105, v56, v49 dst_sel:DWORD dst_unused:UNUSED_PAD src0_sel:WORD_1 src1_sel:DWORD
	;; [unrolled: 2-line block ×3, first 2 shown]
	s_waitcnt lgkmcnt(0)
	v_pk_fma_f16 v80, v58, v110, v80
	v_pk_fma_f16 v81, v59, v110, v81
	;; [unrolled: 1-line block ×8, first 2 shown]
	v_mul_u32_u24_sdwa v92, v54, v49 dst_sel:DWORD dst_unused:UNUSED_PAD src0_sel:WORD_0 src1_sel:DWORD
	v_mul_u32_u24_sdwa v93, v54, v49 dst_sel:DWORD dst_unused:UNUSED_PAD src0_sel:WORD_1 src1_sel:DWORD
	ds_read2_b64 v[54:57], v51 offset1:32
	v_pk_fma_f16 v80, v60, v114, v80
	v_pk_fma_f16 v81, v61, v114, v81
	;; [unrolled: 1-line block ×8, first 2 shown]
	s_waitcnt lgkmcnt(0)
	v_pk_fma_f16 v60, v54, v118, v80
	v_pk_fma_f16 v61, v55, v118, v81
	;; [unrolled: 1-line block ×10, first 2 shown]
	ds_read_b128 v[58:61], v43 offset:416
	v_pk_fma_f16 v78, v56, v64, v78
	v_pk_fma_f16 v62, v57, v64, v62
	;; [unrolled: 1-line block ×6, first 2 shown]
	ds_read_b128 v[54:57], v43 offset:432
	s_waitcnt lgkmcnt(1)
	v_mul_u32_u24_sdwa v90, v58, v49 dst_sel:DWORD dst_unused:UNUSED_PAD src0_sel:WORD_0 src1_sel:DWORD
	v_mul_u32_u24_sdwa v91, v58, v49 dst_sel:DWORD dst_unused:UNUSED_PAD src0_sel:WORD_1 src1_sel:DWORD
	v_mul_u32_u24_sdwa v108, v59, v49 dst_sel:DWORD dst_unused:UNUSED_PAD src0_sel:WORD_0 src1_sel:DWORD
	v_mul_u32_u24_sdwa v109, v59, v49 dst_sel:DWORD dst_unused:UNUSED_PAD src0_sel:WORD_1 src1_sel:DWORD
	;; [unrolled: 2-line block ×4, first 2 shown]
	ds_read2_b64 v[58:61], v51 offset0:64 offset1:96
	s_waitcnt lgkmcnt(1)
	v_mul_u32_u24_sdwa v114, v57, v49 dst_sel:DWORD dst_unused:UNUSED_PAD src0_sel:WORD_0 src1_sel:DWORD
	v_mul_u32_u24_sdwa v115, v57, v49 dst_sel:DWORD dst_unused:UNUSED_PAD src0_sel:WORD_1 src1_sel:DWORD
	s_waitcnt lgkmcnt(0)
	v_pk_fma_f16 v63, v58, v122, v63
	v_pk_fma_f16 v81, v59, v122, v81
	;; [unrolled: 1-line block ×13, first 2 shown]
	v_mul_u32_u24_sdwa v76, v54, v49 dst_sel:DWORD dst_unused:UNUSED_PAD src0_sel:WORD_0 src1_sel:DWORD
	v_mul_u32_u24_sdwa v77, v54, v49 dst_sel:DWORD dst_unused:UNUSED_PAD src0_sel:WORD_1 src1_sel:DWORD
	v_mul_u32_u24_sdwa v78, v55, v49 dst_sel:DWORD dst_unused:UNUSED_PAD src0_sel:WORD_0 src1_sel:DWORD
	v_mul_u32_u24_sdwa v79, v55, v49 dst_sel:DWORD dst_unused:UNUSED_PAD src0_sel:WORD_1 src1_sel:DWORD
	;; [unrolled: 2-line block ×3, first 2 shown]
	ds_read2_b64 v[54:57], v51 offset0:128 offset1:160
	v_pk_fma_f16 v63, v60, v124, v63
	v_pk_fma_f16 v64, v60, v125, v64
	;; [unrolled: 1-line block ×3, first 2 shown]
	s_waitcnt lgkmcnt(0)
	v_pk_fma_f16 v60, v54, v82, v63
	v_pk_fma_f16 v61, v55, v82, v65
	;; [unrolled: 1-line block ×10, first 2 shown]
	ds_read_b128 v[58:61], v43 offset:448
	v_pk_fma_f16 v63, v56, v87, v63
	v_pk_fma_f16 v62, v57, v87, v62
	;; [unrolled: 1-line block ×6, first 2 shown]
	ds_read_b128 v[54:57], v43 offset:464
	s_waitcnt lgkmcnt(1)
	v_mul_u32_u24_sdwa v84, v58, v49 dst_sel:DWORD dst_unused:UNUSED_PAD src0_sel:WORD_0 src1_sel:DWORD
	v_mul_u32_u24_sdwa v85, v58, v49 dst_sel:DWORD dst_unused:UNUSED_PAD src0_sel:WORD_1 src1_sel:DWORD
	v_mul_u32_u24_sdwa v86, v59, v49 dst_sel:DWORD dst_unused:UNUSED_PAD src0_sel:WORD_0 src1_sel:DWORD
	v_mul_u32_u24_sdwa v87, v59, v49 dst_sel:DWORD dst_unused:UNUSED_PAD src0_sel:WORD_1 src1_sel:DWORD
	;; [unrolled: 2-line block ×4, first 2 shown]
	ds_read2_b64 v[58:61], v51 offset0:192 offset1:224
	s_waitcnt lgkmcnt(1)
	v_mul_u32_u24_sdwa v118, v55, v49 dst_sel:DWORD dst_unused:UNUSED_PAD src0_sel:WORD_1 src1_sel:DWORD
	v_mul_u32_u24_sdwa v119, v56, v49 dst_sel:DWORD dst_unused:UNUSED_PAD src0_sel:WORD_0 src1_sel:DWORD
	v_mul_u32_u24_sdwa v120, v56, v49 dst_sel:DWORD dst_unused:UNUSED_PAD src0_sel:WORD_1 src1_sel:DWORD
	v_mul_u32_u24_sdwa v121, v57, v49 dst_sel:DWORD dst_unused:UNUSED_PAD src0_sel:WORD_0 src1_sel:DWORD
	v_mul_u32_u24_sdwa v122, v57, v49 dst_sel:DWORD dst_unused:UNUSED_PAD src0_sel:WORD_1 src1_sel:DWORD
	s_waitcnt lgkmcnt(0)
	v_pk_fma_f16 v74, v58, v9, v74
	v_pk_fma_f16 v9, v59, v9, v75
	v_pk_fma_f16 v63, v58, v16, v63
	v_pk_fma_f16 v16, v59, v16, v62
	v_pk_fma_f16 v62, v58, v15, v64
	v_pk_fma_f16 v15, v59, v15, v65
	v_pk_fma_f16 v58, v58, v14, v82
	v_pk_fma_f16 v14, v59, v14, v83
	v_pk_fma_f16 v59, v60, v13, v74
	v_pk_fma_f16 v64, v61, v13, v9
	v_pk_fma_f16 v63, v60, v12, v63
	v_pk_fma_f16 v65, v61, v12, v16
	v_pk_fma_f16 v62, v60, v11, v62
	v_pk_fma_f16 v74, v61, v11, v15
	v_pk_fma_f16 v58, v60, v10, v58
	v_pk_fma_f16 v60, v61, v10, v14
	ds_read_b128 v[9:12], v43 offset:480
	ds_read_b128 v[13:16], v43 offset:496
	v_mul_u32_u24_sdwa v75, v54, v49 dst_sel:DWORD dst_unused:UNUSED_PAD src0_sel:WORD_0 src1_sel:DWORD
	v_mul_u32_u24_sdwa v82, v54, v49 dst_sel:DWORD dst_unused:UNUSED_PAD src0_sel:WORD_1 src1_sel:DWORD
	v_mul_u32_u24_sdwa v83, v55, v49 dst_sel:DWORD dst_unused:UNUSED_PAD src0_sel:WORD_0 src1_sel:DWORD
	s_waitcnt lgkmcnt(1)
	v_mul_u32_u24_sdwa v123, v9, v49 dst_sel:DWORD dst_unused:UNUSED_PAD src0_sel:WORD_0 src1_sel:DWORD
	v_mul_u32_u24_sdwa v124, v9, v49 dst_sel:DWORD dst_unused:UNUSED_PAD src0_sel:WORD_1 src1_sel:DWORD
	v_mov_b32_e32 v9, v39
	v_add_f32_e32 v39, v68, v72
	v_mul_u32_u24_sdwa v125, v10, v49 dst_sel:DWORD dst_unused:UNUSED_PAD src0_sel:WORD_0 src1_sel:DWORD
	v_mul_u32_u24_sdwa v126, v10, v49 dst_sel:DWORD dst_unused:UNUSED_PAD src0_sel:WORD_1 src1_sel:DWORD
	v_mul_u32_u24_sdwa v127, v11, v49 dst_sel:DWORD dst_unused:UNUSED_PAD src0_sel:WORD_0 src1_sel:DWORD
	v_mul_u32_u24_sdwa v128, v11, v49 dst_sel:DWORD dst_unused:UNUSED_PAD src0_sel:WORD_1 src1_sel:DWORD
	v_fmac_f32_e32 v39, v9, v6
	v_mov_b32_e32 v6, v38
	v_add_f32_e32 v38, v69, v73
	v_mul_u32_u24_sdwa v129, v12, v49 dst_sel:DWORD dst_unused:UNUSED_PAD src0_sel:WORD_0 src1_sel:DWORD
	v_mul_u32_u24_sdwa v130, v12, v49 dst_sel:DWORD dst_unused:UNUSED_PAD src0_sel:WORD_1 src1_sel:DWORD
	s_waitcnt lgkmcnt(0)
	v_mul_u32_u24_sdwa v131, v13, v49 dst_sel:DWORD dst_unused:UNUSED_PAD src0_sel:WORD_0 src1_sel:DWORD
	v_mul_u32_u24_sdwa v132, v13, v49 dst_sel:DWORD dst_unused:UNUSED_PAD src0_sel:WORD_1 src1_sel:DWORD
	v_fmac_f32_e32 v38, v6, v7
	v_mov_b32_e32 v6, v37
	v_add_f32_e32 v37, v66, v70
	v_mov_b32_e32 v7, v36
	v_mul_u32_u24_sdwa v133, v14, v49 dst_sel:DWORD dst_unused:UNUSED_PAD src0_sel:WORD_0 src1_sel:DWORD
	v_mul_u32_u24_sdwa v134, v14, v49 dst_sel:DWORD dst_unused:UNUSED_PAD src0_sel:WORD_1 src1_sel:DWORD
	v_mul_u32_u24_sdwa v135, v15, v49 dst_sel:DWORD dst_unused:UNUSED_PAD src0_sel:WORD_0 src1_sel:DWORD
	v_fmac_f32_e32 v37, v6, v8
	v_add_f32_e32 v6, v67, v71
	v_mul_u32_u24_sdwa v136, v15, v49 dst_sel:DWORD dst_unused:UNUSED_PAD src0_sel:WORD_1 src1_sel:DWORD
	v_mul_u32_u24_sdwa v137, v16, v49 dst_sel:DWORD dst_unused:UNUSED_PAD src0_sel:WORD_0 src1_sel:DWORD
	v_mul_u32_u24_sdwa v138, v16, v49 dst_sel:DWORD dst_unused:UNUSED_PAD src0_sel:WORD_1 src1_sel:DWORD
	v_mov_b32_e32 v36, v6
	v_fmac_f32_e32 v36, v7, v5
	ds_read2_b64 v[5:8], v52 offset1:32
	s_waitcnt lgkmcnt(0)
	v_pk_fma_f16 v9, v5, v94, v59
	v_pk_fma_f16 v10, v6, v94, v64
	;; [unrolled: 1-line block ×16, first 2 shown]
	ds_read2_b64 v[5:8], v52 offset0:64 offset1:96
	s_waitcnt lgkmcnt(0)
	v_pk_fma_f16 v54, v5, v92, v9
	v_pk_fma_f16 v55, v6, v92, v10
	;; [unrolled: 1-line block ×4, first 2 shown]
	ds_read2_b64 v[9:12], v52 offset0:128 offset1:160
	v_pk_fma_f16 v13, v5, v102, v13
	v_pk_fma_f16 v14, v6, v102, v14
	;; [unrolled: 1-line block ×7, first 2 shown]
	ds_read2_b64 v[13:16], v52 offset0:192 offset1:224
	v_pk_fma_f16 v55, v8, v104, v55
	v_pk_fma_f16 v56, v7, v105, v56
	;; [unrolled: 1-line block ×5, first 2 shown]
	ds_read2_b64 v[5:8], v53 offset1:32
	s_waitcnt lgkmcnt(2)
	v_pk_fma_f16 v62, v9, v90, v54
	v_pk_fma_f16 v63, v10, v90, v55
	v_pk_fma_f16 v64, v9, v91, v56
	v_pk_fma_f16 v65, v10, v91, v57
	v_pk_fma_f16 v58, v9, v108, v58
	v_pk_fma_f16 v59, v10, v108, v59
	v_pk_fma_f16 v9, v9, v109, v60
	v_pk_fma_f16 v10, v10, v109, v61
	v_pk_fma_f16 v62, v11, v110, v62
	v_pk_fma_f16 v63, v12, v110, v63
	v_pk_fma_f16 v64, v11, v111, v64
	v_pk_fma_f16 v65, v12, v111, v65
	v_pk_fma_f16 v66, v11, v112, v58
	v_pk_fma_f16 v67, v12, v112, v59
	v_pk_fma_f16 v68, v11, v113, v9
	v_pk_fma_f16 v69, v12, v113, v10
	ds_read2_b64 v[54:57], v53 offset0:64 offset1:96
	s_waitcnt lgkmcnt(2)
	v_pk_fma_f16 v62, v13, v76, v62
	v_pk_fma_f16 v63, v14, v76, v63
	v_pk_fma_f16 v64, v13, v77, v64
	v_pk_fma_f16 v65, v14, v77, v65
	v_pk_fma_f16 v66, v13, v78, v66
	v_pk_fma_f16 v67, v14, v78, v67
	v_pk_fma_f16 v13, v13, v79, v68
	v_pk_fma_f16 v14, v14, v79, v69
	v_pk_fma_f16 v62, v15, v80, v62
	v_pk_fma_f16 v63, v16, v80, v63
	v_pk_fma_f16 v64, v15, v81, v64
	v_pk_fma_f16 v65, v16, v81, v65
	v_pk_fma_f16 v66, v15, v114, v66
	v_pk_fma_f16 v67, v16, v114, v67
	v_pk_fma_f16 v13, v15, v115, v13
	v_pk_fma_f16 v14, v16, v115, v14
	ds_read2_b64 v[58:61], v53 offset0:128 offset1:160
	s_waitcnt lgkmcnt(2)
	v_pk_fma_f16 v15, v5, v84, v62
	v_pk_fma_f16 v16, v5, v85, v64
	v_pk_fma_f16 v62, v6, v84, v63
	v_pk_fma_f16 v63, v6, v85, v65
	v_pk_fma_f16 v64, v5, v86, v66
	v_pk_fma_f16 v65, v6, v86, v67
	v_pk_fma_f16 v5, v5, v87, v13
	v_pk_fma_f16 v6, v6, v87, v14
	v_pk_fma_f16 v13, v7, v88, v15
	v_pk_fma_f16 v14, v7, v89, v16
	v_pk_fma_f16 v15, v8, v88, v62
	v_pk_fma_f16 v16, v8, v89, v63
	v_pk_fma_f16 v62, v7, v116, v64
	v_pk_fma_f16 v5, v7, v117, v5
	v_pk_fma_f16 v7, v8, v116, v65
	v_pk_fma_f16 v6, v8, v117, v6
	ds_read2_b64 v[9:12], v53 offset0:192 offset1:224
	s_waitcnt lgkmcnt(2)
	v_pk_fma_f16 v8, v54, v75, v13
	v_pk_fma_f16 v13, v54, v82, v14
	;; [unrolled: 1-line block ×8, first 2 shown]
	s_waitcnt lgkmcnt(0)
	s_barrier
	buffer_gl0_inv
	s_load_dword s0, s[10:11], 0x4
	v_pk_fma_f16 v8, v56, v119, v8
	v_pk_fma_f16 v13, v56, v120, v13
	;; [unrolled: 1-line block ×32, first 2 shown]
	s_waitcnt lgkmcnt(0)
	s_lshl_b32 s0, s0, 6
	v_pk_fma_f16 v60, v11, v135, v8
	v_pk_fma_f16 v59, v11, v136, v13
	;; [unrolled: 1-line block ×8, first 2 shown]
	s_add_i32 s9, s0, s9
	s_cmp_ge_i32 s9, s30
	s_cbranch_scc0 .LBB9_17
; %bb.18:
	v_mov_b32_e32 v7, 32
	v_mov_b32_e32 v8, v30
.LBB9_19:
	v_cmp_lt_i32_e32 vcc_lo, v35, v7
	s_cmp_lg_u64 s[16:17], 0
	s_cselect_b32 s0, -1, 0
	s_cmp_eq_u32 s28, 0
	v_cndmask_b32_e32 v5, v8, v35, vcc_lo
	v_cmp_lt_i32_e32 vcc_lo, v34, v7
	s_cselect_b32 s1, -1, 0
	s_and_b32 s0, s1, s0
	v_lshlrev_b32_e32 v5, 2, v5
	v_cndmask_b32_e32 v11, v8, v34, vcc_lo
	v_cmp_lt_i32_e32 vcc_lo, v33, v7
	ds_bpermute_b32 v6, v5, v39
	ds_bpermute_b32 v9, v5, v38
	;; [unrolled: 1-line block ×4, first 2 shown]
	v_lshlrev_b32_e32 v11, 2, v11
	v_cndmask_b32_e32 v15, v8, v33, vcc_lo
	v_cmp_lt_i32_e32 vcc_lo, v32, v7
	v_lshlrev_b32_e32 v15, 2, v15
	s_waitcnt lgkmcnt(3)
	v_add_f32_e32 v6, v39, v6
	s_waitcnt lgkmcnt(2)
	v_add_f32_e32 v9, v38, v9
	;; [unrolled: 2-line block ×4, first 2 shown]
	ds_bpermute_b32 v12, v11, v6
	ds_bpermute_b32 v13, v11, v9
	;; [unrolled: 1-line block ×4, first 2 shown]
	s_waitcnt lgkmcnt(3)
	v_add_f32_e32 v6, v6, v12
	s_waitcnt lgkmcnt(2)
	v_add_f32_e32 v9, v9, v13
	;; [unrolled: 2-line block ×4, first 2 shown]
	ds_bpermute_b32 v11, v15, v6
	ds_bpermute_b32 v12, v15, v9
	;; [unrolled: 1-line block ×4, first 2 shown]
	v_cndmask_b32_e32 v15, v8, v32, vcc_lo
	v_cmp_lt_i32_e32 vcc_lo, v31, v7
	v_lshlrev_b32_e32 v15, 2, v15
	v_cndmask_b32_e32 v7, v8, v31, vcc_lo
	s_and_b32 vcc_lo, exec_lo, s0
	v_lshlrev_b32_e32 v7, 2, v7
	s_waitcnt lgkmcnt(3)
	v_add_f32_e32 v6, v6, v11
	s_waitcnt lgkmcnt(2)
	v_add_f32_e32 v9, v9, v12
	;; [unrolled: 2-line block ×4, first 2 shown]
	ds_bpermute_b32 v11, v15, v6
	ds_bpermute_b32 v12, v15, v9
	;; [unrolled: 1-line block ×4, first 2 shown]
	s_waitcnt lgkmcnt(3)
	v_add_f32_e32 v6, v6, v11
	s_waitcnt lgkmcnt(2)
	v_add_f32_e32 v8, v9, v12
	;; [unrolled: 2-line block ×4, first 2 shown]
	ds_bpermute_b32 v5, v7, v6
	ds_bpermute_b32 v11, v7, v8
	;; [unrolled: 1-line block ×4, first 2 shown]
	s_waitcnt lgkmcnt(3)
	v_add_f32_e32 v5, v6, v5
	s_waitcnt lgkmcnt(2)
	v_add_f32_e32 v6, v8, v11
	;; [unrolled: 2-line block ×4, first 2 shown]
	s_cbranch_vccz .LBB9_22
; %bb.20:
	v_add_nc_u32_e32 v9, s33, v27
	v_max_f32_e32 v13, v1, v1
	v_max_f32_e32 v14, v2, v2
	;; [unrolled: 1-line block ×4, first 2 shown]
	v_ashrrev_i32_e32 v10, 31, v9
	v_mov_b32_e32 v22, 0x10001
	v_lshlrev_b64 v[9:10], 2, v[9:10]
	v_add_co_u32 v9, vcc_lo, s16, v9
	v_add_co_ci_u32_e64 v10, null, s17, v10, vcc_lo
	global_load_dwordx4 v[9:12], v[9:10], off
	s_waitcnt vmcnt(0)
	v_max_f32_e32 v16, v9, v9
	v_max_f32_e32 v19, v10, v10
	;; [unrolled: 1-line block ×8, first 2 shown]
	v_sub_f32_e32 v18, v1, v13
	v_sub_f32_e32 v19, v2, v14
	;; [unrolled: 1-line block ×4, first 2 shown]
	v_mov_b32_e32 v1, v13
	v_sub_f32_e32 v9, v9, v13
	v_mov_b32_e32 v2, v14
	v_mov_b32_e32 v3, v15
	;; [unrolled: 1-line block ×3, first 2 shown]
	v_mul_f32_e32 v13, 0x3fb8aa3b, v18
	v_sub_f32_e32 v10, v10, v14
	v_mul_f32_e32 v14, 0x3fb8aa3b, v9
	v_sub_f32_e32 v11, v11, v15
	v_mul_f32_e32 v15, 0x3fb8aa3b, v19
	v_fma_f32 v29, 0x3fb8aa3b, v18, -v13
	v_rndne_f32_e32 v30, v13
	v_fma_f32 v31, 0x3fb8aa3b, v9, -v14
	v_rndne_f32_e32 v32, v14
	v_sub_f32_e32 v12, v12, v16
	v_fmac_f32_e32 v29, 0x32a5705f, v18
	v_sub_f32_e32 v13, v13, v30
	v_mul_f32_e32 v16, 0x3fb8aa3b, v10
	v_fma_f32 v33, 0x3fb8aa3b, v19, -v15
	v_rndne_f32_e32 v34, v15
	v_fmac_f32_e32 v31, 0x32a5705f, v9
	v_sub_f32_e32 v14, v14, v32
	v_add_f32_e32 v13, v13, v29
	v_mul_f32_e32 v23, 0x3fb8aa3b, v20
	v_fma_f32 v35, 0x3fb8aa3b, v10, -v16
	v_rndne_f32_e32 v36, v16
	v_fmac_f32_e32 v33, 0x32a5705f, v19
	v_sub_f32_e32 v15, v15, v34
	v_add_f32_e32 v14, v14, v31
	v_exp_f32_e32 v13, v13
	v_mul_f32_e32 v24, 0x3fb8aa3b, v11
	v_fma_f32 v37, 0x3fb8aa3b, v20, -v23
	v_rndne_f32_e32 v38, v23
	v_cvt_i32_f32_e32 v30, v30
	v_fmac_f32_e32 v35, 0x32a5705f, v10
	v_sub_f32_e32 v16, v16, v36
	v_add_f32_e32 v15, v15, v33
	v_exp_f32_e32 v14, v14
	v_mul_f32_e32 v25, 0x3fb8aa3b, v21
	v_fma_f32 v39, 0x3fb8aa3b, v11, -v24
	v_rndne_f32_e32 v40, v24
	v_cvt_i32_f32_e32 v32, v32
	v_fmac_f32_e32 v37, 0x32a5705f, v20
	v_sub_f32_e32 v23, v23, v38
	v_add_f32_e32 v16, v16, v35
	v_exp_f32_e32 v15, v15
	v_ldexp_f32 v13, v13, v30
	v_cmp_ngt_f32_e32 vcc_lo, 0xc2ce8ed0, v18
	v_mul_f32_e32 v26, 0x3fb8aa3b, v12
	v_fma_f32 v41, 0x3fb8aa3b, v21, -v25
	v_rndne_f32_e32 v42, v25
	v_cvt_i32_f32_e32 v34, v34
	v_fmac_f32_e32 v39, 0x32a5705f, v11
	v_sub_f32_e32 v24, v24, v40
	v_add_f32_e32 v23, v23, v37
	v_exp_f32_e32 v16, v16
	v_ldexp_f32 v14, v14, v32
	v_cndmask_b32_e32 v13, 0, v13, vcc_lo
	v_cmp_ngt_f32_e32 vcc_lo, 0xc2ce8ed0, v9
	v_fma_f32 v43, 0x3fb8aa3b, v12, -v26
	v_rndne_f32_e32 v44, v26
	v_cvt_i32_f32_e32 v36, v36
	v_fmac_f32_e32 v41, 0x32a5705f, v21
	v_sub_f32_e32 v25, v25, v42
	v_add_f32_e32 v24, v24, v39
	v_exp_f32_e32 v23, v23
	v_ldexp_f32 v15, v15, v34
	v_cndmask_b32_e32 v14, 0, v14, vcc_lo
	v_cmp_ngt_f32_e32 vcc_lo, 0xc2ce8ed0, v19
	v_cvt_i32_f32_e32 v38, v38
	v_fmac_f32_e32 v43, 0x32a5705f, v12
	v_sub_f32_e32 v26, v26, v44
	v_add_f32_e32 v25, v25, v41
	v_exp_f32_e32 v24, v24
	v_ldexp_f32 v16, v16, v36
	v_cndmask_b32_e32 v15, 0, v15, vcc_lo
	v_cmp_ngt_f32_e32 vcc_lo, 0xc2ce8ed0, v10
	v_cvt_i32_f32_e32 v40, v40
	v_add_f32_e32 v26, v26, v43
	v_exp_f32_e32 v25, v25
	v_ldexp_f32 v23, v23, v38
	v_cndmask_b32_e32 v16, 0, v16, vcc_lo
	v_cmp_ngt_f32_e32 vcc_lo, 0xc2ce8ed0, v20
	v_exp_f32_e32 v26, v26
	v_cvt_i32_f32_e32 v29, v42
	v_ldexp_f32 v24, v24, v40
	v_cvt_i32_f32_e32 v31, v44
	v_cndmask_b32_e32 v23, 0, v23, vcc_lo
	v_cmp_ngt_f32_e32 vcc_lo, 0xc2ce8ed0, v11
	v_ldexp_f32 v25, v25, v29
	v_cndmask_b32_e32 v24, 0, v24, vcc_lo
	v_cmp_ngt_f32_e32 vcc_lo, 0xc2ce8ed0, v21
	v_ldexp_f32 v26, v26, v31
	v_cndmask_b32_e32 v25, 0, v25, vcc_lo
	v_cmp_ngt_f32_e32 vcc_lo, 0xc2ce8ed0, v12
	v_cndmask_b32_e32 v26, 0, v26, vcc_lo
	v_cmp_nlt_f32_e32 vcc_lo, 0x42b17218, v18
	v_cndmask_b32_e32 v13, 0x7f800000, v13, vcc_lo
	v_cmp_nlt_f32_e32 vcc_lo, 0x42b17218, v9
	;; [unrolled: 2-line block ×3, first 2 shown]
	v_fmac_f32_e32 v9, v5, v13
	v_cndmask_b32_e32 v14, 0x7f800000, v15, vcc_lo
	v_cmp_nlt_f32_e32 vcc_lo, 0x42b17218, v10
	v_cvt_f16_f32_e32 v5, v13
	v_cndmask_b32_e32 v10, 0x7f800000, v16, vcc_lo
	v_cmp_nlt_f32_e32 vcc_lo, 0x42b17218, v20
	v_fmac_f32_e32 v10, v6, v14
	v_cndmask_b32_e32 v15, 0x7f800000, v23, vcc_lo
	v_cmp_nlt_f32_e32 vcc_lo, 0x42b17218, v11
	v_cvt_f16_f32_e32 v6, v14
	v_cndmask_b32_e32 v11, 0x7f800000, v24, vcc_lo
	v_cmp_nlt_f32_e32 vcc_lo, 0x42b17218, v21
	v_mul_u32_u24_sdwa v14, v6, v22 dst_sel:DWORD dst_unused:UNUSED_PAD src0_sel:WORD_0 src1_sel:DWORD
	v_mov_b32_e32 v6, v10
	v_fmac_f32_e32 v11, v7, v15
	v_cndmask_b32_e32 v16, 0x7f800000, v25, vcc_lo
	v_cmp_nlt_f32_e32 vcc_lo, 0x42b17218, v12
	v_cvt_f16_f32_e32 v7, v15
	v_pk_mul_f16 v59, v59, v14
	v_pk_mul_f16 v58, v58, v14
	v_cvt_f16_f32_e32 v13, v16
	v_cndmask_b32_e32 v12, 0x7f800000, v26, vcc_lo
	v_mul_u32_u24_sdwa v15, v7, v22 dst_sel:DWORD dst_unused:UNUSED_PAD src0_sel:WORD_0 src1_sel:DWORD
	v_mov_b32_e32 v7, v11
	v_mul_u32_u24_sdwa v13, v13, v22 dst_sel:DWORD dst_unused:UNUSED_PAD src0_sel:WORD_0 src1_sel:DWORD
	v_fmac_f32_e32 v12, v8, v16
	v_mul_u32_u24_sdwa v8, v5, v22 dst_sel:DWORD dst_unused:UNUSED_PAD src0_sel:WORD_0 src1_sel:DWORD
	v_mov_b32_e32 v5, v9
	v_pk_mul_f16 v57, v57, v15
	v_pk_mul_f16 v56, v56, v15
	;; [unrolled: 1-line block ×6, first 2 shown]
	v_mov_b32_e32 v8, v12
	s_mov_b32 s0, exec_lo
	v_cmpx_gt_i32_e64 s26, v17
	s_cbranch_execnz .LBB9_23
.LBB9_21:
	s_endpgm
.LBB9_22:
	v_mov_b32_e32 v12, v8
	v_mov_b32_e32 v11, v7
	v_mov_b32_e32 v10, v6
	v_mov_b32_e32 v9, v5
	s_mov_b32 s0, exec_lo
	v_cmpx_gt_i32_e64 s26, v17
	s_cbranch_execz .LBB9_21
.LBB9_23:
	s_load_dword s1, s[4:5], 0xd4
	v_mov_b32_e32 v15, 1.0
	s_waitcnt lgkmcnt(0)
	s_cmp_lg_u32 s1, 1
	s_cselect_b32 s3, -1, 0
	s_cmp_eq_u32 s1, 1
	s_cselect_b32 s2, -1, 0
	s_and_b32 vcc_lo, exec_lo, s3
	s_cbranch_vccnz .LBB9_25
; %bb.24:
	v_div_scale_f32 v13, null, v5, v5, 1.0
	v_rcp_f32_e32 v14, v13
	v_fma_f32 v15, -v13, v14, 1.0
	v_fmac_f32_e32 v14, v15, v14
	v_div_scale_f32 v15, vcc_lo, 1.0, v5, 1.0
	v_mul_f32_e32 v16, v15, v14
	v_fma_f32 v18, -v13, v16, v15
	v_fmac_f32_e32 v16, v18, v14
	v_fma_f32 v13, -v13, v16, v15
	v_div_fmas_f32 v13, v13, v14, v16
	v_div_fixup_f32 v15, v13, v5, 1.0
.LBB9_25:
	v_mad_u64_u32 v[13:14], null, s29, s26, v[17:18]
	v_mov_b32_e32 v17, 0
	v_cmp_eq_u32_e32 vcc_lo, 0, v0
	v_cvt_f32_f16_e32 v0, v60
	v_cvt_f32_f16_sdwa v19, v61 dst_sel:DWORD dst_unused:UNUSED_PAD src0_sel:WORD_1
	v_mul_lo_u32 v5, v13, s27
	v_mul_f32_e32 v19, v15, v19
	v_add3_u32 v5, s33, v27, v5
	v_mad_u64_u32 v[13:14], null, s1, v5, s[28:29]
	v_cvt_f32_f16_e32 v14, v61
	v_cvt_f32_f16_sdwa v5, v60 dst_sel:DWORD dst_unused:UNUSED_PAD src0_sel:WORD_1
	v_mul_f32_e32 v18, v15, v14
	v_lshl_add_u32 v16, v13, 7, v28
	v_lshlrev_b64 v[20:21], 2, v[16:17]
	v_mul_f32_e32 v16, v15, v0
	v_mul_f32_e32 v17, v15, v5
	v_add_co_u32 v14, s0, s20, v20
	v_add_co_ci_u32_e64 v15, null, s21, v21, s0
	s_and_b32 s0, vcc_lo, s3
	global_store_dwordx4 v[14:15], v[16:19], off
	s_and_saveexec_b32 s3, s0
	s_cbranch_execz .LBB9_27
; %bb.26:
	v_ashrrev_i32_e32 v14, 31, v13
	v_mov_b32_e32 v0, v1
	v_mov_b32_e32 v1, v9
	v_lshlrev_b64 v[14:15], 3, v[13:14]
	v_add_co_u32 v14, vcc_lo, s22, v14
	v_add_co_ci_u32_e64 v15, null, s23, v15, vcc_lo
	global_store_dwordx2 v[14:15], v[0:1], off
.LBB9_27:
	s_or_b32 exec_lo, exec_lo, s3
	v_cndmask_b32_e64 v5, 0, 1, s2
	v_mov_b32_e32 v1, 1.0
	s_andn2_b32 vcc_lo, exec_lo, s2
	s_cbranch_vccnz .LBB9_29
; %bb.28:
	v_div_scale_f32 v0, null, v6, v6, 1.0
	v_rcp_f32_e32 v1, v0
	v_fma_f32 v9, -v0, v1, 1.0
	v_fmac_f32_e32 v1, v9, v1
	v_div_scale_f32 v9, vcc_lo, 1.0, v6, 1.0
	v_mul_f32_e32 v14, v9, v1
	v_fma_f32 v15, -v0, v14, v9
	v_fmac_f32_e32 v14, v15, v1
	v_fma_f32 v0, -v0, v14, v9
	v_div_fmas_f32 v0, v0, v1, v14
	v_div_fixup_f32 v1, v0, v6, 1.0
.LBB9_29:
	v_add_nc_u32_e32 v0, s1, v13
	v_mov_b32_e32 v14, 0
	v_cvt_f32_f16_e32 v6, v59
	v_cvt_f32_f16_sdwa v9, v59 dst_sel:DWORD dst_unused:UNUSED_PAD src0_sel:WORD_1
	v_cvt_f32_f16_e32 v15, v58
	v_lshl_add_u32 v13, v0, 7, v28
	v_cvt_f32_f16_sdwa v16, v58 dst_sel:DWORD dst_unused:UNUSED_PAD src0_sel:WORD_1
	v_mul_f32_e32 v15, v1, v15
	v_lshlrev_b64 v[17:18], 2, v[13:14]
	v_mul_f32_e32 v13, v1, v6
	v_mul_f32_e32 v14, v1, v9
	;; [unrolled: 1-line block ×3, first 2 shown]
	v_add_co_u32 v17, vcc_lo, s20, v17
	v_add_co_ci_u32_e64 v18, null, s21, v18, vcc_lo
	global_store_dwordx4 v[17:18], v[13:16], off
	s_and_saveexec_b32 s2, s0
	s_cbranch_execz .LBB9_31
; %bb.30:
	v_ashrrev_i32_e32 v1, 31, v0
	v_mov_b32_e32 v9, v2
	v_lshlrev_b64 v[13:14], 3, v[0:1]
	v_add_co_u32 v13, vcc_lo, s22, v13
	v_add_co_ci_u32_e64 v14, null, s23, v14, vcc_lo
	global_store_dwordx2 v[13:14], v[9:10], off
.LBB9_31:
	s_or_b32 exec_lo, exec_lo, s2
	v_cmp_ne_u32_e32 vcc_lo, 1, v5
	v_mov_b32_e32 v1, 1.0
	s_cbranch_vccnz .LBB9_33
; %bb.32:
	v_div_scale_f32 v1, null, v7, v7, 1.0
	v_rcp_f32_e32 v2, v1
	v_fma_f32 v6, -v1, v2, 1.0
	v_fmac_f32_e32 v2, v6, v2
	v_div_scale_f32 v6, vcc_lo, 1.0, v7, 1.0
	v_mul_f32_e32 v9, v6, v2
	v_fma_f32 v10, -v1, v9, v6
	v_fmac_f32_e32 v9, v10, v2
	v_fma_f32 v1, -v1, v9, v6
	v_div_fmas_f32 v1, v1, v2, v9
	v_div_fixup_f32 v1, v1, v7, 1.0
.LBB9_33:
	v_add_nc_u32_e32 v0, s1, v0
	v_mov_b32_e32 v7, 0
	v_cvt_f32_f16_e32 v2, v57
	v_cvt_f32_f16_sdwa v9, v57 dst_sel:DWORD dst_unused:UNUSED_PAD src0_sel:WORD_1
	v_cvt_f32_f16_e32 v10, v56
	v_lshl_add_u32 v6, v0, 7, v28
	v_cvt_f32_f16_sdwa v16, v56 dst_sel:DWORD dst_unused:UNUSED_PAD src0_sel:WORD_1
	v_mul_f32_e32 v13, v1, v2
	v_mul_f32_e32 v14, v1, v9
	;; [unrolled: 1-line block ×3, first 2 shown]
	v_lshlrev_b64 v[6:7], 2, v[6:7]
	v_mul_f32_e32 v16, v1, v16
	v_add_co_u32 v1, vcc_lo, s20, v6
	v_add_co_ci_u32_e64 v2, null, s21, v7, vcc_lo
	global_store_dwordx4 v[1:2], v[13:16], off
	s_and_saveexec_b32 s2, s0
	s_cbranch_execz .LBB9_35
; %bb.34:
	v_ashrrev_i32_e32 v1, 31, v0
	v_mov_b32_e32 v10, v3
	v_lshlrev_b64 v[1:2], 3, v[0:1]
	v_add_co_u32 v1, vcc_lo, s22, v1
	v_add_co_ci_u32_e64 v2, null, s23, v2, vcc_lo
	global_store_dwordx2 v[1:2], v[10:11], off
.LBB9_35:
	s_or_b32 exec_lo, exec_lo, s2
	v_cmp_ne_u32_e32 vcc_lo, 1, v5
	v_mov_b32_e32 v1, 1.0
	s_cbranch_vccnz .LBB9_37
; %bb.36:
	v_div_scale_f32 v1, null, v8, v8, 1.0
	v_rcp_f32_e32 v2, v1
	v_fma_f32 v3, -v1, v2, 1.0
	v_fmac_f32_e32 v2, v3, v2
	v_div_scale_f32 v3, vcc_lo, 1.0, v8, 1.0
	v_mul_f32_e32 v5, v3, v2
	v_fma_f32 v6, -v1, v5, v3
	v_fmac_f32_e32 v5, v6, v2
	v_fma_f32 v1, -v1, v5, v3
	v_div_fmas_f32 v1, v1, v2, v5
	v_div_fixup_f32 v1, v1, v8, 1.0
.LBB9_37:
	v_add_nc_u32_e32 v0, s1, v0
	v_mov_b32_e32 v3, 0
	v_cvt_f32_f16_e32 v5, v55
	v_cvt_f32_f16_sdwa v6, v55 dst_sel:DWORD dst_unused:UNUSED_PAD src0_sel:WORD_1
	v_cvt_f32_f16_e32 v7, v54
	v_lshl_add_u32 v2, v0, 7, v28
	v_cvt_f32_f16_sdwa v8, v54 dst_sel:DWORD dst_unused:UNUSED_PAD src0_sel:WORD_1
	v_mul_f32_e32 v5, v1, v5
	v_mul_f32_e32 v6, v1, v6
	;; [unrolled: 1-line block ×3, first 2 shown]
	v_lshlrev_b64 v[2:3], 2, v[2:3]
	v_mul_f32_e32 v8, v1, v8
	v_add_co_u32 v1, vcc_lo, s20, v2
	v_add_co_ci_u32_e64 v2, null, s21, v3, vcc_lo
	global_store_dwordx4 v[1:2], v[5:8], off
	s_and_b32 exec_lo, exec_lo, s0
	s_cbranch_execz .LBB9_21
; %bb.38:
	v_ashrrev_i32_e32 v1, 31, v0
	v_mov_b32_e32 v11, v4
	v_lshlrev_b64 v[0:1], 3, v[0:1]
	v_add_co_u32 v0, vcc_lo, s22, v0
	v_add_co_ci_u32_e64 v1, null, s23, v1, vcc_lo
	global_store_dwordx2 v[0:1], v[11:12], off
	s_endpgm
	.section	.rodata,"a",@progbits
	.p2align	6, 0x0
	.amdhsa_kernel _ZL15flash_attn_tileILi192ELi128ELi4ELi8ELb0EEvPKcS1_S1_S1_S1_PKiPfP15HIP_vector_typeIfLj2EEffffjfiS5_IjLj3EEiiiiiiiiiiiliiliiiiil
		.amdhsa_group_segment_fixed_size 25600
		.amdhsa_private_segment_fixed_size 0
		.amdhsa_kernarg_size 464
		.amdhsa_user_sgpr_count 6
		.amdhsa_user_sgpr_private_segment_buffer 1
		.amdhsa_user_sgpr_dispatch_ptr 0
		.amdhsa_user_sgpr_queue_ptr 0
		.amdhsa_user_sgpr_kernarg_segment_ptr 1
		.amdhsa_user_sgpr_dispatch_id 0
		.amdhsa_user_sgpr_flat_scratch_init 0
		.amdhsa_user_sgpr_private_segment_size 0
		.amdhsa_wavefront_size32 1
		.amdhsa_uses_dynamic_stack 0
		.amdhsa_system_sgpr_private_segment_wavefront_offset 0
		.amdhsa_system_sgpr_workgroup_id_x 1
		.amdhsa_system_sgpr_workgroup_id_y 1
		.amdhsa_system_sgpr_workgroup_id_z 1
		.amdhsa_system_sgpr_workgroup_info 0
		.amdhsa_system_vgpr_workitem_id 1
		.amdhsa_next_free_vgpr 139
		.amdhsa_next_free_sgpr 40
		.amdhsa_reserve_vcc 1
		.amdhsa_reserve_flat_scratch 0
		.amdhsa_float_round_mode_32 0
		.amdhsa_float_round_mode_16_64 0
		.amdhsa_float_denorm_mode_32 3
		.amdhsa_float_denorm_mode_16_64 3
		.amdhsa_dx10_clamp 1
		.amdhsa_ieee_mode 1
		.amdhsa_fp16_overflow 0
		.amdhsa_workgroup_processor_mode 1
		.amdhsa_memory_ordered 1
		.amdhsa_forward_progress 1
		.amdhsa_shared_vgpr_count 0
		.amdhsa_exception_fp_ieee_invalid_op 0
		.amdhsa_exception_fp_denorm_src 0
		.amdhsa_exception_fp_ieee_div_zero 0
		.amdhsa_exception_fp_ieee_overflow 0
		.amdhsa_exception_fp_ieee_underflow 0
		.amdhsa_exception_fp_ieee_inexact 0
		.amdhsa_exception_int_div_zero 0
	.end_amdhsa_kernel
	.section	.text._ZL15flash_attn_tileILi192ELi128ELi4ELi8ELb0EEvPKcS1_S1_S1_S1_PKiPfP15HIP_vector_typeIfLj2EEffffjfiS5_IjLj3EEiiiiiiiiiiiliiliiiiil,"axG",@progbits,_ZL15flash_attn_tileILi192ELi128ELi4ELi8ELb0EEvPKcS1_S1_S1_S1_PKiPfP15HIP_vector_typeIfLj2EEffffjfiS5_IjLj3EEiiiiiiiiiiiliiliiiiil,comdat
.Lfunc_end9:
	.size	_ZL15flash_attn_tileILi192ELi128ELi4ELi8ELb0EEvPKcS1_S1_S1_S1_PKiPfP15HIP_vector_typeIfLj2EEffffjfiS5_IjLj3EEiiiiiiiiiiiliiliiiiil, .Lfunc_end9-_ZL15flash_attn_tileILi192ELi128ELi4ELi8ELb0EEvPKcS1_S1_S1_S1_PKiPfP15HIP_vector_typeIfLj2EEffffjfiS5_IjLj3EEiiiiiiiiiiiliiliiiiil
                                        ; -- End function
	.set _ZL15flash_attn_tileILi192ELi128ELi4ELi8ELb0EEvPKcS1_S1_S1_S1_PKiPfP15HIP_vector_typeIfLj2EEffffjfiS5_IjLj3EEiiiiiiiiiiiliiliiiiil.num_vgpr, 139
	.set _ZL15flash_attn_tileILi192ELi128ELi4ELi8ELb0EEvPKcS1_S1_S1_S1_PKiPfP15HIP_vector_typeIfLj2EEffffjfiS5_IjLj3EEiiiiiiiiiiiliiliiiiil.num_agpr, 0
	.set _ZL15flash_attn_tileILi192ELi128ELi4ELi8ELb0EEvPKcS1_S1_S1_S1_PKiPfP15HIP_vector_typeIfLj2EEffffjfiS5_IjLj3EEiiiiiiiiiiiliiliiiiil.numbered_sgpr, 40
	.set _ZL15flash_attn_tileILi192ELi128ELi4ELi8ELb0EEvPKcS1_S1_S1_S1_PKiPfP15HIP_vector_typeIfLj2EEffffjfiS5_IjLj3EEiiiiiiiiiiiliiliiiiil.num_named_barrier, 0
	.set _ZL15flash_attn_tileILi192ELi128ELi4ELi8ELb0EEvPKcS1_S1_S1_S1_PKiPfP15HIP_vector_typeIfLj2EEffffjfiS5_IjLj3EEiiiiiiiiiiiliiliiiiil.private_seg_size, 0
	.set _ZL15flash_attn_tileILi192ELi128ELi4ELi8ELb0EEvPKcS1_S1_S1_S1_PKiPfP15HIP_vector_typeIfLj2EEffffjfiS5_IjLj3EEiiiiiiiiiiiliiliiiiil.uses_vcc, 1
	.set _ZL15flash_attn_tileILi192ELi128ELi4ELi8ELb0EEvPKcS1_S1_S1_S1_PKiPfP15HIP_vector_typeIfLj2EEffffjfiS5_IjLj3EEiiiiiiiiiiiliiliiiiil.uses_flat_scratch, 0
	.set _ZL15flash_attn_tileILi192ELi128ELi4ELi8ELb0EEvPKcS1_S1_S1_S1_PKiPfP15HIP_vector_typeIfLj2EEffffjfiS5_IjLj3EEiiiiiiiiiiiliiliiiiil.has_dyn_sized_stack, 0
	.set _ZL15flash_attn_tileILi192ELi128ELi4ELi8ELb0EEvPKcS1_S1_S1_S1_PKiPfP15HIP_vector_typeIfLj2EEffffjfiS5_IjLj3EEiiiiiiiiiiiliiliiiiil.has_recursion, 0
	.set _ZL15flash_attn_tileILi192ELi128ELi4ELi8ELb0EEvPKcS1_S1_S1_S1_PKiPfP15HIP_vector_typeIfLj2EEffffjfiS5_IjLj3EEiiiiiiiiiiiliiliiiiil.has_indirect_call, 0
	.section	.AMDGPU.csdata,"",@progbits
; Kernel info:
; codeLenInByte = 31596
; TotalNumSgprs: 42
; NumVgprs: 139
; ScratchSize: 0
; MemoryBound: 0
; FloatMode: 240
; IeeeMode: 1
; LDSByteSize: 25600 bytes/workgroup (compile time only)
; SGPRBlocks: 0
; VGPRBlocks: 17
; NumSGPRsForWavesPerEU: 42
; NumVGPRsForWavesPerEU: 139
; Occupancy: 7
; WaveLimiterHint : 1
; COMPUTE_PGM_RSRC2:SCRATCH_EN: 0
; COMPUTE_PGM_RSRC2:USER_SGPR: 6
; COMPUTE_PGM_RSRC2:TRAP_HANDLER: 0
; COMPUTE_PGM_RSRC2:TGID_X_EN: 1
; COMPUTE_PGM_RSRC2:TGID_Y_EN: 1
; COMPUTE_PGM_RSRC2:TGID_Z_EN: 1
; COMPUTE_PGM_RSRC2:TIDIG_COMP_CNT: 1
	.section	.text._ZL25flash_attn_mask_to_KV_maxILi4EEvPK7__half2Piiii,"axG",@progbits,_ZL25flash_attn_mask_to_KV_maxILi4EEvPK7__half2Piiii,comdat
	.globl	_ZL25flash_attn_mask_to_KV_maxILi4EEvPK7__half2Piiii ; -- Begin function _ZL25flash_attn_mask_to_KV_maxILi4EEvPK7__half2Piiii
	.p2align	8
	.type	_ZL25flash_attn_mask_to_KV_maxILi4EEvPK7__half2Piiii,@function
_ZL25flash_attn_mask_to_KV_maxILi4EEvPK7__half2Piiii: ; @_ZL25flash_attn_mask_to_KV_maxILi4EEvPK7__half2Piiii
; %bb.0:
	s_load_dwordx4 s[8:11], s[4:5], 0x0
	s_mov_b32 s0, exec_lo
	v_cmpx_gt_u32_e32 32, v0
; %bb.1:
	v_lshlrev_b32_e32 v1, 2, v0
	v_mov_b32_e32 v2, 1
	ds_write_b32 v1, v2
; %bb.2:
	s_or_b32 exec_lo, exec_lo, s0
	s_clause 0x1
	s_load_dwordx4 s[12:15], s[4:5], 0x10
	s_load_dword s1, s[4:5], 0x20
	v_and_b32_e32 v1, 31, v0
	v_lshrrev_b32_e32 v5, 3, v0
	v_mov_b32_e32 v2, 0
	v_mov_b32_e32 v6, 0x204
	s_waitcnt lgkmcnt(0)
	v_lshlrev_b32_e32 v7, 2, v1
	s_barrier
	buffer_gl0_inv
	s_mul_i32 s0, s6, s13
	s_mul_i32 s2, s14, s7
	s_lshl_b32 s0, s0, 2
	s_add_i32 s2, s2, s0
	v_cmp_eq_u32_e64 s0, 0, v1
	s_ashr_i32 s3, s2, 31
	s_lshl_b64 s[4:5], s[2:3], 2
	s_add_u32 s3, s8, s4
	s_addc_u32 s4, s9, s5
	s_lshl_b32 s5, s12, 8
	s_branch .LBB10_4
.LBB10_3:                               ;   in Loop: Header=BB10_4 Depth=1
	s_or_b32 exec_lo, exec_lo, s8
	s_waitcnt lgkmcnt(0)
	s_barrier
	buffer_gl0_inv
	ds_read_b32 v1, v7
	s_waitcnt lgkmcnt(0)
	s_barrier
	buffer_gl0_inv
	v_cmp_ne_u32_e32 vcc_lo, 0, v1
	s_cmp_lg_u32 vcc_lo, exec_lo
	s_cselect_b32 s8, -1, 0
	s_and_b32 vcc_lo, exec_lo, s8
	s_cbranch_vccnz .LBB10_20
.LBB10_4:                               ; =>This Inner Loop Header: Depth=1
	s_mov_b32 s2, s5
	s_addk_i32 s5, 0xff00
	s_cmp_lt_i32 s5, 0
	s_cbranch_scc1 .LBB10_19
; %bb.5:                                ;   in Loop: Header=BB10_4 Depth=1
	s_lshr_b32 s8, s5, 1
	v_add_nc_u32_e32 v1, s8, v0
	v_lshlrev_b64 v[3:4], 2, v[1:2]
	v_add_co_u32 v3, vcc_lo, s3, v3
	v_add_co_ci_u32_e64 v4, null, s4, v4, vcc_lo
	global_load_dword v3, v[3:4], off
	s_waitcnt vmcnt(0)
	v_cmp_class_f16_e64 s8, v3, 0x204
	v_cmp_class_f16_sdwa s9, v3, v6 src0_sel:WORD_1 src1_sel:DWORD
	s_and_b32 s12, s8, s9
	s_mov_b32 s9, 0
	s_and_saveexec_b32 s8, s12
	s_cbranch_execz .LBB10_17
; %bb.6:                                ;   in Loop: Header=BB10_4 Depth=1
	v_add_nc_u32_e32 v3, s13, v1
	s_mov_b32 s12, 0
	v_ashrrev_i32_e32 v4, 31, v3
	v_lshlrev_b64 v[8:9], 2, v[3:4]
	v_add_co_u32 v8, vcc_lo, s3, v8
	v_add_co_ci_u32_e64 v9, null, s4, v9, vcc_lo
	global_load_dword v1, v[8:9], off
	s_waitcnt vmcnt(0)
	v_cmp_class_f16_e64 s14, v1, 0x204
	s_and_saveexec_b32 s9, s14
	s_cbranch_execz .LBB10_16
; %bb.7:                                ;   in Loop: Header=BB10_4 Depth=1
	v_cmp_class_f16_sdwa s15, v1, v6 src0_sel:WORD_1 src1_sel:DWORD
	s_mov_b32 s14, 0
	s_and_saveexec_b32 s12, s15
	s_cbranch_execz .LBB10_15
; %bb.8:                                ;   in Loop: Header=BB10_4 Depth=1
	v_add_nc_u32_e32 v3, s13, v3
	s_mov_b32 s15, 0
	v_ashrrev_i32_e32 v4, 31, v3
	v_lshlrev_b64 v[8:9], 2, v[3:4]
	v_add_co_u32 v8, vcc_lo, s3, v8
	v_add_co_ci_u32_e64 v9, null, s4, v9, vcc_lo
	global_load_dword v1, v[8:9], off
	s_waitcnt vmcnt(0)
	v_cmp_class_f16_e64 s16, v1, 0x204
	s_and_saveexec_b32 s14, s16
	s_cbranch_execz .LBB10_14
; %bb.9:                                ;   in Loop: Header=BB10_4 Depth=1
	v_cmp_class_f16_sdwa s17, v1, v6 src0_sel:WORD_1 src1_sel:DWORD
	s_mov_b32 s16, 0
	s_and_saveexec_b32 s15, s17
	s_cbranch_execz .LBB10_13
; %bb.10:                               ;   in Loop: Header=BB10_4 Depth=1
	v_add_nc_u32_e32 v3, s13, v3
	v_ashrrev_i32_e32 v4, 31, v3
	v_lshlrev_b64 v[3:4], 2, v[3:4]
	v_add_co_u32 v3, vcc_lo, s3, v3
	v_add_co_ci_u32_e64 v4, null, s4, v4, vcc_lo
	global_load_dword v1, v[3:4], off
	s_waitcnt vmcnt(0)
	v_cmp_class_f16_e64 s18, v1, 0x204
	s_and_saveexec_b32 s17, s18
; %bb.11:                               ;   in Loop: Header=BB10_4 Depth=1
	v_cmp_class_f16_sdwa s16, v1, v6 src0_sel:WORD_1 src1_sel:DWORD
	s_and_b32 s16, s16, exec_lo
; %bb.12:                               ;   in Loop: Header=BB10_4 Depth=1
	s_or_b32 exec_lo, exec_lo, s17
	s_and_b32 s16, s16, exec_lo
.LBB10_13:                              ;   in Loop: Header=BB10_4 Depth=1
	s_or_b32 exec_lo, exec_lo, s15
	s_and_b32 s15, s16, exec_lo
.LBB10_14:                              ;   in Loop: Header=BB10_4 Depth=1
	s_or_b32 exec_lo, exec_lo, s14
	s_and_b32 s14, s15, exec_lo
.LBB10_15:                              ;   in Loop: Header=BB10_4 Depth=1
	s_or_b32 exec_lo, exec_lo, s12
	s_and_b32 s12, s14, exec_lo
.LBB10_16:                              ;   in Loop: Header=BB10_4 Depth=1
	s_or_b32 exec_lo, exec_lo, s9
	s_and_b32 s9, s12, exec_lo
.LBB10_17:                              ;   in Loop: Header=BB10_4 Depth=1
	s_or_b32 exec_lo, exec_lo, s8
	v_cndmask_b32_e64 v1, 0, 1, s9
	s_mov_b32 s12, exec_lo
	v_cmp_ne_u32_e32 vcc_lo, 0, v1
	s_and_saveexec_b32 s8, s0
	s_cbranch_execz .LBB10_3
; %bb.18:                               ;   in Loop: Header=BB10_4 Depth=1
	s_cmp_eq_u32 vcc_lo, s12
	s_cselect_b32 s9, -1, 0
	v_cndmask_b32_e64 v1, 0, 1, s9
	ds_write_b32 v5, v1
	s_branch .LBB10_3
.LBB10_19:                              ;   in Loop: Header=BB10_4 Depth=1
	s_cbranch_execz .LBB10_4
.LBB10_20:
	s_mov_b32 s0, exec_lo
	v_cmpx_eq_u32_e32 0, v0
	s_cbranch_execz .LBB10_22
; %bb.21:
	s_mul_i32 s0, s1, s7
	v_mov_b32_e32 v0, 0
	s_add_i32 s0, s0, s6
	v_mov_b32_e32 v1, s2
	s_ashr_i32 s1, s0, 31
	s_lshl_b64 s[0:1], s[0:1], 2
	s_add_u32 s0, s10, s0
	s_addc_u32 s1, s11, s1
	global_store_dword v0, v1, s[0:1]
.LBB10_22:
	s_endpgm
	.section	.rodata,"a",@progbits
	.p2align	6, 0x0
	.amdhsa_kernel _ZL25flash_attn_mask_to_KV_maxILi4EEvPK7__half2Piiii
		.amdhsa_group_segment_fixed_size 128
		.amdhsa_private_segment_fixed_size 0
		.amdhsa_kernarg_size 288
		.amdhsa_user_sgpr_count 6
		.amdhsa_user_sgpr_private_segment_buffer 1
		.amdhsa_user_sgpr_dispatch_ptr 0
		.amdhsa_user_sgpr_queue_ptr 0
		.amdhsa_user_sgpr_kernarg_segment_ptr 1
		.amdhsa_user_sgpr_dispatch_id 0
		.amdhsa_user_sgpr_flat_scratch_init 0
		.amdhsa_user_sgpr_private_segment_size 0
		.amdhsa_wavefront_size32 1
		.amdhsa_uses_dynamic_stack 0
		.amdhsa_system_sgpr_private_segment_wavefront_offset 0
		.amdhsa_system_sgpr_workgroup_id_x 1
		.amdhsa_system_sgpr_workgroup_id_y 1
		.amdhsa_system_sgpr_workgroup_id_z 0
		.amdhsa_system_sgpr_workgroup_info 0
		.amdhsa_system_vgpr_workitem_id 0
		.amdhsa_next_free_vgpr 10
		.amdhsa_next_free_sgpr 19
		.amdhsa_reserve_vcc 1
		.amdhsa_reserve_flat_scratch 0
		.amdhsa_float_round_mode_32 0
		.amdhsa_float_round_mode_16_64 0
		.amdhsa_float_denorm_mode_32 3
		.amdhsa_float_denorm_mode_16_64 3
		.amdhsa_dx10_clamp 1
		.amdhsa_ieee_mode 1
		.amdhsa_fp16_overflow 0
		.amdhsa_workgroup_processor_mode 1
		.amdhsa_memory_ordered 1
		.amdhsa_forward_progress 1
		.amdhsa_shared_vgpr_count 0
		.amdhsa_exception_fp_ieee_invalid_op 0
		.amdhsa_exception_fp_denorm_src 0
		.amdhsa_exception_fp_ieee_div_zero 0
		.amdhsa_exception_fp_ieee_overflow 0
		.amdhsa_exception_fp_ieee_underflow 0
		.amdhsa_exception_fp_ieee_inexact 0
		.amdhsa_exception_int_div_zero 0
	.end_amdhsa_kernel
	.section	.text._ZL25flash_attn_mask_to_KV_maxILi4EEvPK7__half2Piiii,"axG",@progbits,_ZL25flash_attn_mask_to_KV_maxILi4EEvPK7__half2Piiii,comdat
.Lfunc_end10:
	.size	_ZL25flash_attn_mask_to_KV_maxILi4EEvPK7__half2Piiii, .Lfunc_end10-_ZL25flash_attn_mask_to_KV_maxILi4EEvPK7__half2Piiii
                                        ; -- End function
	.set _ZL25flash_attn_mask_to_KV_maxILi4EEvPK7__half2Piiii.num_vgpr, 10
	.set _ZL25flash_attn_mask_to_KV_maxILi4EEvPK7__half2Piiii.num_agpr, 0
	.set _ZL25flash_attn_mask_to_KV_maxILi4EEvPK7__half2Piiii.numbered_sgpr, 19
	.set _ZL25flash_attn_mask_to_KV_maxILi4EEvPK7__half2Piiii.num_named_barrier, 0
	.set _ZL25flash_attn_mask_to_KV_maxILi4EEvPK7__half2Piiii.private_seg_size, 0
	.set _ZL25flash_attn_mask_to_KV_maxILi4EEvPK7__half2Piiii.uses_vcc, 1
	.set _ZL25flash_attn_mask_to_KV_maxILi4EEvPK7__half2Piiii.uses_flat_scratch, 0
	.set _ZL25flash_attn_mask_to_KV_maxILi4EEvPK7__half2Piiii.has_dyn_sized_stack, 0
	.set _ZL25flash_attn_mask_to_KV_maxILi4EEvPK7__half2Piiii.has_recursion, 0
	.set _ZL25flash_attn_mask_to_KV_maxILi4EEvPK7__half2Piiii.has_indirect_call, 0
	.section	.AMDGPU.csdata,"",@progbits
; Kernel info:
; codeLenInByte = 708
; TotalNumSgprs: 21
; NumVgprs: 10
; ScratchSize: 0
; MemoryBound: 0
; FloatMode: 240
; IeeeMode: 1
; LDSByteSize: 128 bytes/workgroup (compile time only)
; SGPRBlocks: 0
; VGPRBlocks: 1
; NumSGPRsForWavesPerEU: 21
; NumVGPRsForWavesPerEU: 10
; Occupancy: 16
; WaveLimiterHint : 0
; COMPUTE_PGM_RSRC2:SCRATCH_EN: 0
; COMPUTE_PGM_RSRC2:USER_SGPR: 6
; COMPUTE_PGM_RSRC2:TRAP_HANDLER: 0
; COMPUTE_PGM_RSRC2:TGID_X_EN: 1
; COMPUTE_PGM_RSRC2:TGID_Y_EN: 1
; COMPUTE_PGM_RSRC2:TGID_Z_EN: 0
; COMPUTE_PGM_RSRC2:TIDIG_COMP_CNT: 0
	.section	.text._ZL33flash_attn_stream_k_fixup_uniformILi128ELi4ELi8EEvPfPK15HIP_vector_typeIfLj2EEiiiiiiS1_IjLj3EES5_S5_,"axG",@progbits,_ZL33flash_attn_stream_k_fixup_uniformILi128ELi4ELi8EEvPfPK15HIP_vector_typeIfLj2EEiiiiiiS1_IjLj3EES5_S5_,comdat
	.globl	_ZL33flash_attn_stream_k_fixup_uniformILi128ELi4ELi8EEvPfPK15HIP_vector_typeIfLj2EEiiiiiiS1_IjLj3EES5_S5_ ; -- Begin function _ZL33flash_attn_stream_k_fixup_uniformILi128ELi4ELi8EEvPfPK15HIP_vector_typeIfLj2EEiiiiiiS1_IjLj3EES5_S5_
	.p2align	8
	.type	_ZL33flash_attn_stream_k_fixup_uniformILi128ELi4ELi8EEvPfPK15HIP_vector_typeIfLj2EEiiiiiiS1_IjLj3EES5_S5_,@function
_ZL33flash_attn_stream_k_fixup_uniformILi128ELi4ELi8EEvPfPK15HIP_vector_typeIfLj2EEiiiiiiS1_IjLj3EES5_S5_: ; @_ZL33flash_attn_stream_k_fixup_uniformILi128ELi4ELi8EEvPfPK15HIP_vector_typeIfLj2EEiiiiiiS1_IjLj3EES5_S5_
; %bb.0:
	s_clause 0x2
	s_load_dwordx8 s[12:19], s[4:5], 0x1c
	s_load_dwordx4 s[20:23], s[4:5], 0x3c
	s_load_dwordx2 s[10:11], s[4:5], 0x10
	s_waitcnt lgkmcnt(0)
	s_mul_hi_u32 s0, s15, s6
	s_add_i32 s0, s6, s0
	s_lshr_b32 s0, s0, s16
	s_mul_i32 s1, s0, s17
	s_sub_i32 s2, s6, s1
	s_mul_hi_u32 s1, s2, s18
	s_add_i32 s1, s2, s1
	s_lshr_b32 s1, s1, s19
	s_mul_i32 s3, s1, s20
	s_sub_i32 s2, s2, s3
	s_mul_hi_u32 s3, s2, s21
	s_add_i32 s3, s2, s3
	s_lshr_b32 s3, s3, s22
	s_mul_i32 s9, s3, s23
	s_lshl_b32 s15, s3, 3
	s_sub_i32 s9, s2, s9
	s_lshl_b32 s2, s9, 2
	s_add_i32 s2, s2, s7
	s_cmp_lt_i32 s2, s10
	s_cselect_b32 s2, -1, 0
	s_add_i32 s3, s15, s8
	s_cmp_lt_i32 s3, s13
	s_cselect_b32 s3, -1, 0
	s_and_b32 s2, s2, s3
	s_andn2_b32 vcc_lo, exec_lo, s2
	s_cbranch_vccnz .LBB11_6
; %bb.1:
	s_mul_i32 s0, s0, s10
	s_mul_i32 s10, s1, s13
	s_add_i32 s0, s0, s7
	s_mul_i32 s0, s0, s11
	s_add_i32 s13, s0, s8
	s_load_dwordx4 s[0:3], s[4:5], 0x0
	s_add_i32 s4, s13, s10
	s_mul_i32 s5, s11, s9
	s_add_i32 s4, s4, s15
	s_lshl_b32 s5, s5, 9
	s_lshl_b32 s4, s4, 7
	;; [unrolled: 1-line block ×3, first 2 shown]
	s_add_i32 s5, s5, s4
	s_mul_i32 s4, s14, s6
	v_or_b32_e32 v1, s5, v0
	s_add_i32 s11, s4, s14
	v_ashrrev_i32_e32 v2, 31, v1
	v_lshlrev_b64 v[1:2], 2, v[1:2]
	s_waitcnt lgkmcnt(0)
	v_add_co_u32 v1, vcc_lo, s0, v1
	v_add_co_ci_u32_e64 v2, null, s1, v2, vcc_lo
	s_add_i32 s0, s10, s8
	s_lshl_b32 s1, s11, 5
	s_add_i32 s0, s0, s1
	global_load_dword v5, v[1:2], off
	s_sub_i32 s0, s0, 32
	s_ashr_i32 s1, s0, 31
	s_lshl_b64 s[0:1], s[0:1], 3
	s_add_u32 s0, s2, s0
	s_addc_u32 s1, s3, s1
	s_add_i32 s5, s11, -2
	s_load_dword s13, s[0:1], 0x4
	s_cmp_lt_i32 s5, s4
	s_cbranch_scc1 .LBB11_4
; %bb.2:
	s_lshl_b32 s16, s12, 7
	s_load_dword s15, s[0:1], 0x0
	s_ashr_i32 s17, s16, 31
	s_waitcnt lgkmcnt(0)
	v_mov_b32_e32 v6, s13
	s_lshl_b64 s[0:1], s[16:17], 2
	s_add_u32 s5, s2, s0
	s_addc_u32 s9, s3, s1
	s_add_i32 s6, s6, 1
	s_lshl_b32 s0, s7, 10
	s_lshl_b32 s1, s8, 7
	s_mul_i32 s6, s14, s6
	s_add_i32 s0, s1, s0
	s_lshl_b32 s1, s6, 12
	s_add_i32 s0, s0, s1
	s_lshl_b32 s1, s6, 5
	v_or_b32_e32 v0, s0, v0
	s_lshl_b32 s0, s12, 5
	s_add_i32 s1, s8, s1
	s_add_i32 s6, s11, -1
	s_add_i32 s0, s1, s0
	v_add_nc_u32_e32 v3, 0xffffe000, v0
	v_mov_b32_e32 v0, s15
	s_add_i32 s0, s0, s10
	s_sub_i32 s0, s0, 64
.LBB11_3:                               ; =>This Inner Loop Header: Depth=1
	v_ashrrev_i32_e32 v4, 31, v3
	s_ashr_i32 s1, s0, 31
	s_lshl_b64 s[10:11], s[0:1], 3
	s_add_u32 s10, s2, s10
	v_lshlrev_b64 v[7:8], 2, v[3:4]
	s_addc_u32 s11, s3, s11
	v_add_nc_u32_e32 v3, 0xfffff000, v3
	s_add_i32 s6, s6, -1
	s_sub_i32 s0, s0, 32
	s_cmp_le_i32 s6, s4
	v_add_co_u32 v7, vcc_lo, s5, v7
	v_add_co_ci_u32_e64 v8, null, s9, v8, vcc_lo
	s_load_dwordx2 s[10:11], s[10:11], 0x0
	global_load_dword v4, v[7:8], off
	v_max_f32_e32 v7, v0, v0
	s_waitcnt lgkmcnt(0)
	v_max_f32_e64 v8, s10, s10
	v_max_f32_e32 v7, v7, v8
	v_sub_f32_e32 v8, s10, v7
	v_sub_f32_e32 v0, v0, v7
	v_mul_f32_e32 v9, 0x3fb8aa3b, v8
	v_mul_f32_e32 v12, 0x3fb8aa3b, v0
	v_cmp_ngt_f32_e32 vcc_lo, 0xc2ce8ed0, v8
	v_fma_f32 v10, 0x3fb8aa3b, v8, -v9
	v_rndne_f32_e32 v11, v9
	v_fma_f32 v13, 0x3fb8aa3b, v0, -v12
	v_rndne_f32_e32 v14, v12
	v_fmac_f32_e32 v10, 0x32a5705f, v8
	v_sub_f32_e32 v9, v9, v11
	v_fmac_f32_e32 v13, 0x32a5705f, v0
	v_cvt_i32_f32_e32 v11, v11
	v_add_f32_e32 v9, v9, v10
	v_sub_f32_e32 v10, v12, v14
	v_exp_f32_e32 v9, v9
	v_add_f32_e32 v10, v10, v13
	v_exp_f32_e32 v10, v10
	v_ldexp_f32 v9, v9, v11
	v_cvt_i32_f32_e32 v11, v14
	v_cndmask_b32_e32 v9, 0, v9, vcc_lo
	v_cmp_nlt_f32_e32 vcc_lo, 0x42b17218, v8
	v_ldexp_f32 v10, v10, v11
	v_mov_b32_e32 v11, v6
	v_cndmask_b32_e32 v9, 0x7f800000, v9, vcc_lo
	v_cmp_ngt_f32_e32 vcc_lo, 0xc2ce8ed0, v0
	v_cndmask_b32_e32 v10, 0, v10, vcc_lo
	v_cmp_le_f32_e32 vcc_lo, 0xc1a00000, v8
	v_cndmask_b32_e32 v8, 0, v9, vcc_lo
	v_cmp_nlt_f32_e32 vcc_lo, 0x42b17218, v0
	s_waitcnt vmcnt(1)
	v_mov_b32_e32 v9, v5
	v_cndmask_b32_e32 v5, 0x7f800000, v10, vcc_lo
	v_mul_f32_e32 v10, s11, v8
	v_cmp_le_f32_e32 vcc_lo, 0xc1a00000, v0
	v_mov_b32_e32 v0, v7
	v_mov_b32_e32 v6, v10
	v_cndmask_b32_e32 v12, 0, v5, vcc_lo
	v_fmac_f32_e32 v6, v11, v12
	s_waitcnt vmcnt(0)
	v_mul_f32_e32 v5, v4, v8
	v_fmac_f32_e32 v5, v9, v12
	s_cbranch_scc0 .LBB11_3
	s_branch .LBB11_5
.LBB11_4:
	s_waitcnt lgkmcnt(0)
	v_mov_b32_e32 v6, s13
.LBB11_5:
	s_waitcnt vmcnt(0)
	v_div_scale_f32 v0, null, v6, v6, v5
	v_rcp_f32_e32 v3, v0
	v_fma_f32 v4, -v0, v3, 1.0
	v_fmac_f32_e32 v3, v4, v3
	v_div_scale_f32 v4, vcc_lo, v5, v6, v5
	v_mul_f32_e32 v7, v4, v3
	v_fma_f32 v8, -v0, v7, v4
	v_fmac_f32_e32 v7, v8, v3
	v_fma_f32 v0, -v0, v7, v4
	v_div_fmas_f32 v0, v0, v3, v7
	v_div_fixup_f32 v0, v0, v6, v5
	global_store_dword v[1:2], v0, off
.LBB11_6:
	s_endpgm
	.section	.rodata,"a",@progbits
	.p2align	6, 0x0
	.amdhsa_kernel _ZL33flash_attn_stream_k_fixup_uniformILi128ELi4ELi8EEvPfPK15HIP_vector_typeIfLj2EEiiiiiiS1_IjLj3EES5_S5_
		.amdhsa_group_segment_fixed_size 0
		.amdhsa_private_segment_fixed_size 0
		.amdhsa_kernarg_size 76
		.amdhsa_user_sgpr_count 6
		.amdhsa_user_sgpr_private_segment_buffer 1
		.amdhsa_user_sgpr_dispatch_ptr 0
		.amdhsa_user_sgpr_queue_ptr 0
		.amdhsa_user_sgpr_kernarg_segment_ptr 1
		.amdhsa_user_sgpr_dispatch_id 0
		.amdhsa_user_sgpr_flat_scratch_init 0
		.amdhsa_user_sgpr_private_segment_size 0
		.amdhsa_wavefront_size32 1
		.amdhsa_uses_dynamic_stack 0
		.amdhsa_system_sgpr_private_segment_wavefront_offset 0
		.amdhsa_system_sgpr_workgroup_id_x 1
		.amdhsa_system_sgpr_workgroup_id_y 1
		.amdhsa_system_sgpr_workgroup_id_z 1
		.amdhsa_system_sgpr_workgroup_info 0
		.amdhsa_system_vgpr_workitem_id 0
		.amdhsa_next_free_vgpr 15
		.amdhsa_next_free_sgpr 24
		.amdhsa_reserve_vcc 1
		.amdhsa_reserve_flat_scratch 0
		.amdhsa_float_round_mode_32 0
		.amdhsa_float_round_mode_16_64 0
		.amdhsa_float_denorm_mode_32 3
		.amdhsa_float_denorm_mode_16_64 3
		.amdhsa_dx10_clamp 1
		.amdhsa_ieee_mode 1
		.amdhsa_fp16_overflow 0
		.amdhsa_workgroup_processor_mode 1
		.amdhsa_memory_ordered 1
		.amdhsa_forward_progress 1
		.amdhsa_shared_vgpr_count 0
		.amdhsa_exception_fp_ieee_invalid_op 0
		.amdhsa_exception_fp_denorm_src 0
		.amdhsa_exception_fp_ieee_div_zero 0
		.amdhsa_exception_fp_ieee_overflow 0
		.amdhsa_exception_fp_ieee_underflow 0
		.amdhsa_exception_fp_ieee_inexact 0
		.amdhsa_exception_int_div_zero 0
	.end_amdhsa_kernel
	.section	.text._ZL33flash_attn_stream_k_fixup_uniformILi128ELi4ELi8EEvPfPK15HIP_vector_typeIfLj2EEiiiiiiS1_IjLj3EES5_S5_,"axG",@progbits,_ZL33flash_attn_stream_k_fixup_uniformILi128ELi4ELi8EEvPfPK15HIP_vector_typeIfLj2EEiiiiiiS1_IjLj3EES5_S5_,comdat
.Lfunc_end11:
	.size	_ZL33flash_attn_stream_k_fixup_uniformILi128ELi4ELi8EEvPfPK15HIP_vector_typeIfLj2EEiiiiiiS1_IjLj3EES5_S5_, .Lfunc_end11-_ZL33flash_attn_stream_k_fixup_uniformILi128ELi4ELi8EEvPfPK15HIP_vector_typeIfLj2EEiiiiiiS1_IjLj3EES5_S5_
                                        ; -- End function
	.set _ZL33flash_attn_stream_k_fixup_uniformILi128ELi4ELi8EEvPfPK15HIP_vector_typeIfLj2EEiiiiiiS1_IjLj3EES5_S5_.num_vgpr, 15
	.set _ZL33flash_attn_stream_k_fixup_uniformILi128ELi4ELi8EEvPfPK15HIP_vector_typeIfLj2EEiiiiiiS1_IjLj3EES5_S5_.num_agpr, 0
	.set _ZL33flash_attn_stream_k_fixup_uniformILi128ELi4ELi8EEvPfPK15HIP_vector_typeIfLj2EEiiiiiiS1_IjLj3EES5_S5_.numbered_sgpr, 24
	.set _ZL33flash_attn_stream_k_fixup_uniformILi128ELi4ELi8EEvPfPK15HIP_vector_typeIfLj2EEiiiiiiS1_IjLj3EES5_S5_.num_named_barrier, 0
	.set _ZL33flash_attn_stream_k_fixup_uniformILi128ELi4ELi8EEvPfPK15HIP_vector_typeIfLj2EEiiiiiiS1_IjLj3EES5_S5_.private_seg_size, 0
	.set _ZL33flash_attn_stream_k_fixup_uniformILi128ELi4ELi8EEvPfPK15HIP_vector_typeIfLj2EEiiiiiiS1_IjLj3EES5_S5_.uses_vcc, 1
	.set _ZL33flash_attn_stream_k_fixup_uniformILi128ELi4ELi8EEvPfPK15HIP_vector_typeIfLj2EEiiiiiiS1_IjLj3EES5_S5_.uses_flat_scratch, 0
	.set _ZL33flash_attn_stream_k_fixup_uniformILi128ELi4ELi8EEvPfPK15HIP_vector_typeIfLj2EEiiiiiiS1_IjLj3EES5_S5_.has_dyn_sized_stack, 0
	.set _ZL33flash_attn_stream_k_fixup_uniformILi128ELi4ELi8EEvPfPK15HIP_vector_typeIfLj2EEiiiiiiS1_IjLj3EES5_S5_.has_recursion, 0
	.set _ZL33flash_attn_stream_k_fixup_uniformILi128ELi4ELi8EEvPfPK15HIP_vector_typeIfLj2EEiiiiiiS1_IjLj3EES5_S5_.has_indirect_call, 0
	.section	.AMDGPU.csdata,"",@progbits
; Kernel info:
; codeLenInByte = 848
; TotalNumSgprs: 26
; NumVgprs: 15
; ScratchSize: 0
; MemoryBound: 0
; FloatMode: 240
; IeeeMode: 1
; LDSByteSize: 0 bytes/workgroup (compile time only)
; SGPRBlocks: 0
; VGPRBlocks: 1
; NumSGPRsForWavesPerEU: 26
; NumVGPRsForWavesPerEU: 15
; Occupancy: 16
; WaveLimiterHint : 0
; COMPUTE_PGM_RSRC2:SCRATCH_EN: 0
; COMPUTE_PGM_RSRC2:USER_SGPR: 6
; COMPUTE_PGM_RSRC2:TRAP_HANDLER: 0
; COMPUTE_PGM_RSRC2:TGID_X_EN: 1
; COMPUTE_PGM_RSRC2:TGID_Y_EN: 1
; COMPUTE_PGM_RSRC2:TGID_Z_EN: 1
; COMPUTE_PGM_RSRC2:TIDIG_COMP_CNT: 0
	.section	.text._ZL33flash_attn_stream_k_fixup_generalILi128ELi4ELi8EEvPfPK15HIP_vector_typeIfLj2EEiiiiS1_IjLj3EES5_S5_S5_,"axG",@progbits,_ZL33flash_attn_stream_k_fixup_generalILi128ELi4ELi8EEvPfPK15HIP_vector_typeIfLj2EEiiiiS1_IjLj3EES5_S5_S5_,comdat
	.globl	_ZL33flash_attn_stream_k_fixup_generalILi128ELi4ELi8EEvPfPK15HIP_vector_typeIfLj2EEiiiiS1_IjLj3EES5_S5_S5_ ; -- Begin function _ZL33flash_attn_stream_k_fixup_generalILi128ELi4ELi8EEvPfPK15HIP_vector_typeIfLj2EEiiiiS1_IjLj3EES5_S5_S5_
	.p2align	8
	.type	_ZL33flash_attn_stream_k_fixup_generalILi128ELi4ELi8EEvPfPK15HIP_vector_typeIfLj2EEiiiiS1_IjLj3EES5_S5_S5_,@function
_ZL33flash_attn_stream_k_fixup_generalILi128ELi4ELi8EEvPfPK15HIP_vector_typeIfLj2EEiiiiS1_IjLj3EES5_S5_S5_: ; @_ZL33flash_attn_stream_k_fixup_generalILi128ELi4ELi8EEvPfPK15HIP_vector_typeIfLj2EEiiiiS1_IjLj3EES5_S5_S5_
; %bb.0:
	s_clause 0x1
	s_load_dwordx4 s[0:3], s[4:5], 0x10
	s_load_dword s9, s[4:5], 0x50
	s_mov_b32 s16, 0
	s_waitcnt lgkmcnt(0)
	s_mul_hi_i32 s17, s3, s6
	s_mul_i32 s18, s3, s6
	s_cmp_lg_u64 s[16:17], 0
	s_cbranch_scc0 .LBB12_21
; %bb.1:
	s_add_u32 s10, s9, 0
	s_addc_u32 s11, 0, 0
	s_xor_b64 s[10:11], s[10:11], 0
	v_cvt_f32_u32_e32 v1, s10
	v_cvt_f32_u32_e32 v2, s11
	s_sub_u32 s14, 0, s10
	s_subb_u32 s15, 0, s11
	v_fmamk_f32 v1, v2, 0x4f800000, v1
	v_rcp_f32_e32 v1, v1
	v_mul_f32_e32 v1, 0x5f7ffffc, v1
	v_mul_f32_e32 v2, 0x2f800000, v1
	v_trunc_f32_e32 v2, v2
	v_fmamk_f32 v1, v2, 0xcf800000, v1
	v_cvt_u32_f32_e32 v2, v2
	v_cvt_u32_f32_e32 v1, v1
	v_readfirstlane_b32 s12, v2
	v_readfirstlane_b32 s13, v1
	s_mul_i32 s19, s14, s12
	s_mul_hi_u32 s21, s14, s13
	s_mul_i32 s20, s15, s13
	s_add_i32 s19, s21, s19
	s_mul_i32 s22, s14, s13
	s_add_i32 s19, s19, s20
	s_mul_hi_u32 s21, s13, s22
	s_mul_i32 s24, s13, s19
	s_mul_hi_u32 s23, s12, s22
	s_mul_i32 s20, s12, s22
	s_mul_hi_u32 s22, s13, s19
	s_add_u32 s21, s21, s24
	s_addc_u32 s22, 0, s22
	s_mul_hi_u32 s25, s12, s19
	s_add_u32 s20, s21, s20
	s_mul_i32 s19, s12, s19
	s_addc_u32 s20, s22, s23
	s_addc_u32 s21, s25, 0
	s_add_u32 s19, s20, s19
	s_addc_u32 s20, 0, s21
	s_add_u32 s13, s13, s19
	s_cselect_b32 s19, -1, 0
	s_mul_hi_u32 s21, s14, s13
	s_cmp_lg_u32 s19, 0
	s_mul_i32 s19, s14, s13
	s_addc_u32 s12, s12, s20
	s_mul_i32 s15, s15, s13
	s_mul_i32 s14, s14, s12
	s_mul_hi_u32 s20, s13, s19
	s_add_i32 s14, s21, s14
	s_mul_hi_u32 s21, s12, s19
	s_add_i32 s14, s14, s15
	s_mul_i32 s15, s12, s19
	s_mul_i32 s23, s13, s14
	s_mul_hi_u32 s22, s13, s14
	s_add_u32 s20, s20, s23
	s_addc_u32 s22, 0, s22
	s_mul_hi_u32 s19, s12, s14
	s_add_u32 s15, s20, s15
	s_mul_i32 s14, s12, s14
	s_addc_u32 s15, s22, s21
	s_addc_u32 s19, s19, 0
	s_add_u32 s14, s15, s14
	s_addc_u32 s15, 0, s19
	s_add_u32 s19, s13, s14
	s_cselect_b32 s13, -1, 0
	s_cmp_lg_u32 s13, 0
	s_addc_u32 s20, s12, s15
	s_ashr_i32 s12, s17, 31
	s_add_u32 s14, s18, s12
	s_mov_b32 s13, s12
	s_addc_u32 s15, s17, s12
	s_xor_b64 s[14:15], s[14:15], s[12:13]
	s_mul_i32 s21, s14, s20
	s_mul_hi_u32 s22, s14, s19
	s_mul_hi_u32 s17, s14, s20
	;; [unrolled: 1-line block ×3, first 2 shown]
	s_mul_i32 s19, s15, s19
	s_add_u32 s21, s22, s21
	s_addc_u32 s17, 0, s17
	s_mul_hi_u32 s23, s15, s20
	s_add_u32 s19, s21, s19
	s_mul_i32 s20, s15, s20
	s_addc_u32 s17, s17, s24
	s_addc_u32 s19, s23, 0
	s_add_u32 s17, s17, s20
	s_addc_u32 s19, 0, s19
	s_mul_hi_u32 s20, s10, s17
	s_mul_i32 s21, s10, s19
	s_mul_i32 s22, s11, s17
	s_add_i32 s20, s20, s21
	s_mul_i32 s21, s10, s17
	s_add_i32 s20, s20, s22
	s_sub_i32 s22, s15, s20
	s_sub_u32 s14, s14, s21
	s_cselect_b32 s21, -1, 0
	s_cmp_lg_u32 s21, 0
	s_subb_u32 s22, s22, s11
	s_sub_u32 s23, s14, s10
	s_cselect_b32 s24, -1, 0
	s_cmp_lg_u32 s24, 0
	s_subb_u32 s22, s22, 0
	s_cmp_ge_u32 s22, s11
	s_cselect_b32 s24, -1, 0
	s_cmp_ge_u32 s23, s10
	s_cselect_b32 s23, -1, 0
	s_cmp_eq_u32 s22, s11
	s_cselect_b32 s22, s23, s24
	s_add_u32 s23, s17, 1
	s_addc_u32 s24, s19, 0
	s_add_u32 s25, s17, 2
	s_addc_u32 s26, s19, 0
	s_cmp_lg_u32 s22, 0
	s_cselect_b32 s22, s25, s23
	s_cselect_b32 s23, s26, s24
	s_cmp_lg_u32 s21, 0
	s_subb_u32 s15, s15, s20
	s_cmp_ge_u32 s15, s11
	s_cselect_b32 s20, -1, 0
	s_cmp_ge_u32 s14, s10
	s_cselect_b32 s10, -1, 0
	s_cmp_eq_u32 s15, s11
	s_cselect_b32 s10, s10, s20
	s_cmp_lg_u32 s10, 0
	s_cselect_b32 s11, s23, s19
	s_cselect_b32 s10, s22, s17
	s_xor_b64 s[12:13], s[12:13], 0
	s_xor_b64 s[10:11], s[10:11], s[12:13]
	s_sub_u32 s10, s10, s12
	s_load_dwordx4 s[12:15], s[4:5], 0x44
	s_andn2_b32 vcc_lo, exec_lo, s16
	s_cbranch_vccnz .LBB12_3
.LBB12_2:
	v_cvt_f32_u32_e32 v1, s9
	s_sub_i32 s11, 0, s9
	v_rcp_iflag_f32_e32 v1, v1
	v_mul_f32_e32 v1, 0x4f7ffffe, v1
	v_cvt_u32_f32_e32 v1, v1
	v_readfirstlane_b32 s10, v1
	s_mul_i32 s11, s11, s10
	s_mul_hi_u32 s11, s10, s11
	s_add_i32 s10, s10, s11
	s_mul_hi_u32 s10, s18, s10
	s_mul_i32 s11, s10, s9
	s_waitcnt lgkmcnt(0)
	s_add_i32 s15, s10, 1
	s_sub_i32 s11, s18, s11
	s_sub_i32 s16, s11, s9
	s_cmp_ge_u32 s11, s9
	s_cselect_b32 s10, s15, s10
	s_cselect_b32 s11, s16, s11
	s_add_i32 s15, s10, 1
	s_cmp_ge_u32 s11, s9
	s_cselect_b32 s10, s15, s10
.LBB12_3:
	s_add_i32 s11, s6, 1
	s_mov_b32 s16, 0
	s_mul_hi_i32 s17, s3, s11
	s_mul_i32 s11, s3, s11
	s_cmp_lg_u64 s[16:17], 0
	s_cbranch_scc0 .LBB12_22
; %bb.4:
	s_add_u32 s18, s9, 0
	s_addc_u32 s19, 0, 0
	s_xor_b64 s[18:19], s[18:19], 0
	v_cvt_f32_u32_e32 v1, s18
	v_cvt_f32_u32_e32 v2, s19
	s_sub_u32 s21, 0, s18
	s_subb_u32 s22, 0, s19
	v_fmamk_f32 v1, v2, 0x4f800000, v1
	v_rcp_f32_e32 v1, v1
	v_mul_f32_e32 v1, 0x5f7ffffc, v1
	v_mul_f32_e32 v2, 0x2f800000, v1
	v_trunc_f32_e32 v2, v2
	v_fmamk_f32 v1, v2, 0xcf800000, v1
	v_cvt_u32_f32_e32 v2, v2
	v_cvt_u32_f32_e32 v1, v1
	s_waitcnt lgkmcnt(0)
	v_readfirstlane_b32 s15, v2
	v_readfirstlane_b32 s20, v1
	s_mul_i32 s23, s21, s15
	s_mul_hi_u32 s25, s21, s20
	s_mul_i32 s24, s22, s20
	s_add_i32 s23, s25, s23
	s_mul_i32 s26, s21, s20
	s_add_i32 s23, s23, s24
	s_mul_hi_u32 s25, s20, s26
	s_mul_i32 s28, s20, s23
	s_mul_hi_u32 s27, s15, s26
	s_mul_i32 s24, s15, s26
	s_mul_hi_u32 s26, s20, s23
	s_add_u32 s25, s25, s28
	s_addc_u32 s26, 0, s26
	s_mul_hi_u32 s29, s15, s23
	s_add_u32 s24, s25, s24
	s_mul_i32 s23, s15, s23
	s_addc_u32 s24, s26, s27
	s_addc_u32 s25, s29, 0
	s_add_u32 s23, s24, s23
	s_addc_u32 s24, 0, s25
	s_add_u32 s20, s20, s23
	s_cselect_b32 s23, -1, 0
	s_mul_hi_u32 s25, s21, s20
	s_cmp_lg_u32 s23, 0
	s_mul_i32 s23, s21, s20
	s_addc_u32 s15, s15, s24
	s_mul_i32 s22, s22, s20
	s_mul_i32 s21, s21, s15
	s_mul_hi_u32 s24, s20, s23
	s_add_i32 s21, s25, s21
	s_mul_hi_u32 s25, s15, s23
	s_add_i32 s21, s21, s22
	s_mul_i32 s22, s15, s23
	s_mul_i32 s27, s20, s21
	s_mul_hi_u32 s26, s20, s21
	s_add_u32 s24, s24, s27
	s_addc_u32 s26, 0, s26
	s_mul_hi_u32 s23, s15, s21
	s_add_u32 s22, s24, s22
	s_mul_i32 s21, s15, s21
	s_addc_u32 s22, s26, s25
	s_addc_u32 s23, s23, 0
	s_add_u32 s21, s22, s21
	s_addc_u32 s22, 0, s23
	s_add_u32 s24, s20, s21
	s_cselect_b32 s20, -1, 0
	s_cmp_lg_u32 s20, 0
	s_addc_u32 s15, s15, s22
	s_ashr_i32 s20, s17, 31
	s_add_u32 s22, s11, s20
	s_mov_b32 s21, s20
	s_addc_u32 s23, s17, s20
	s_xor_b64 s[22:23], s[22:23], s[20:21]
	s_mul_i32 s25, s22, s15
	s_mul_hi_u32 s26, s22, s24
	s_mul_hi_u32 s17, s22, s15
	;; [unrolled: 1-line block ×3, first 2 shown]
	s_mul_i32 s24, s23, s24
	s_add_u32 s25, s26, s25
	s_addc_u32 s17, 0, s17
	s_mul_hi_u32 s27, s23, s15
	s_add_u32 s24, s25, s24
	s_mul_i32 s15, s23, s15
	s_addc_u32 s17, s17, s28
	s_addc_u32 s24, s27, 0
	s_add_u32 s15, s17, s15
	s_addc_u32 s17, 0, s24
	s_mul_hi_u32 s24, s18, s15
	s_mul_i32 s25, s18, s17
	s_mul_i32 s26, s19, s15
	s_add_i32 s24, s24, s25
	s_mul_i32 s25, s18, s15
	s_add_i32 s24, s24, s26
	s_sub_i32 s26, s23, s24
	s_sub_u32 s22, s22, s25
	s_cselect_b32 s25, -1, 0
	s_cmp_lg_u32 s25, 0
	s_subb_u32 s26, s26, s19
	s_sub_u32 s27, s22, s18
	s_cselect_b32 s28, -1, 0
	s_cmp_lg_u32 s28, 0
	s_subb_u32 s26, s26, 0
	s_cmp_ge_u32 s26, s19
	s_cselect_b32 s28, -1, 0
	s_cmp_ge_u32 s27, s18
	s_cselect_b32 s27, -1, 0
	s_cmp_eq_u32 s26, s19
	s_cselect_b32 s26, s27, s28
	s_add_u32 s27, s15, 1
	s_addc_u32 s28, s17, 0
	s_add_u32 s29, s15, 2
	s_addc_u32 s30, s17, 0
	s_cmp_lg_u32 s26, 0
	s_cselect_b32 s26, s29, s27
	s_cselect_b32 s27, s30, s28
	s_cmp_lg_u32 s25, 0
	s_subb_u32 s23, s23, s24
	s_cmp_ge_u32 s23, s19
	s_cselect_b32 s24, -1, 0
	s_cmp_ge_u32 s22, s18
	s_cselect_b32 s18, -1, 0
	s_cmp_eq_u32 s23, s19
	s_cselect_b32 s18, s18, s24
	s_cmp_lg_u32 s18, 0
	s_cselect_b32 s19, s27, s17
	s_cselect_b32 s18, s26, s15
	s_xor_b64 s[20:21], s[20:21], 0
	s_xor_b64 s[18:19], s[18:19], s[20:21]
	s_sub_u32 s18, s18, s20
	s_andn2_b32 vcc_lo, exec_lo, s16
	s_cbranch_vccnz .LBB12_6
.LBB12_5:
	v_cvt_f32_u32_e32 v1, s9
	s_sub_i32 s16, 0, s9
	v_rcp_iflag_f32_e32 v1, v1
	v_mul_f32_e32 v1, 0x4f7ffffe, v1
	v_cvt_u32_f32_e32 v1, v1
	s_waitcnt lgkmcnt(0)
	v_readfirstlane_b32 s15, v1
	s_mul_i32 s16, s16, s15
	s_mul_hi_u32 s16, s15, s16
	s_add_i32 s15, s15, s16
	s_mul_hi_u32 s15, s11, s15
	s_mul_i32 s16, s15, s9
	s_sub_i32 s11, s11, s16
	s_add_i32 s16, s15, 1
	s_sub_i32 s17, s11, s9
	s_cmp_ge_u32 s11, s9
	s_cselect_b32 s15, s16, s15
	s_cselect_b32 s11, s17, s11
	s_add_i32 s16, s15, 1
	s_cmp_ge_u32 s11, s9
	s_cselect_b32 s18, s16, s15
.LBB12_6:
	s_cmp_eq_u32 s10, s18
	s_waitcnt lgkmcnt(0)
	s_mul_hi_u32 s11, s10, s12
	s_cselect_b32 s15, -1, 0
	s_add_i32 s11, s11, s10
	s_lshr_b32 s11, s11, s13
	s_mul_i32 s16, s11, s14
	s_cmp_eq_u32 s16, s10
	s_mul_hi_u32 s16, s18, s12
	s_cselect_b32 s17, -1, 0
	s_add_i32 s16, s16, s18
	s_lshr_b32 s16, s16, s13
	s_cmp_eq_u32 s11, s16
	s_mul_i32 s16, s16, s14
	s_cselect_b32 s19, -1, 0
	s_cmp_lg_u32 s16, s18
	s_cselect_b32 s16, -1, 0
	s_or_b32 s15, s15, s17
	s_and_b32 s16, s19, s16
	s_or_b32 s15, s15, s16
	s_and_b32 vcc_lo, exec_lo, s15
	s_cbranch_vccnz .LBB12_24
; %bb.7:
	s_clause 0x1
	s_load_dwordx8 s[20:27], s[4:5], 0x20
	s_load_dword s16, s[4:5], 0x40
	s_waitcnt lgkmcnt(0)
	s_mul_hi_u32 s15, s10, s20
	s_add_i32 s15, s15, s10
	s_lshr_b32 s15, s15, s21
	s_mul_i32 s17, s15, s22
	s_sub_i32 s17, s10, s17
	s_mul_hi_u32 s18, s17, s23
	s_add_i32 s18, s17, s18
	s_lshr_b32 s22, s18, s24
	s_mul_i32 s18, s22, s25
	s_sub_i32 s17, s17, s18
	s_mul_hi_u32 s18, s17, s26
	s_add_i32 s18, s17, s18
	s_lshr_b32 s18, s18, s27
	s_mul_i32 s16, s18, s16
	s_lshl_b32 s24, s18, 3
	s_sub_i32 s16, s17, s16
	s_mul_hi_u32 s17, s16, s12
	s_add_i32 s16, s16, s17
	s_lshr_b32 s23, s16, s13
	s_lshl_b32 s16, s23, 2
	s_add_i32 s16, s16, s7
	s_cmp_lt_i32 s16, s0
	s_cselect_b32 s16, -1, 0
	s_add_i32 s17, s24, s8
	s_cmp_lt_i32 s17, s2
	s_cselect_b32 s17, -1, 0
	s_and_b32 s16, s16, s17
	s_andn2_b32 vcc_lo, exec_lo, s16
	s_cbranch_vccnz .LBB12_24
; %bb.8:
	s_load_dwordx4 s[16:19], s[4:5], 0x0
	s_mov_b32 s4, 0
	s_lshl_b32 s20, s9, 7
	s_mov_b32 s21, s4
	s_lshl_b32 s5, s7, 3
	s_lshl_b64 s[20:21], s[20:21], 2
	s_mul_i32 s0, s15, s0
	s_add_i32 s15, s5, s8
	s_mul_i32 s22, s22, s2
	v_cvt_f32_u32_e32 v4, s9
	v_rcp_iflag_f32_e32 v4, v4
	s_waitcnt lgkmcnt(0)
	s_add_u32 s20, s18, s20
	s_addc_u32 s21, s19, s21
	s_add_i32 s0, s0, s7
	s_mul_i32 s0, s0, s1
	s_mul_i32 s1, s1, s23
	s_add_i32 s0, s0, s8
	s_lshl_b32 s1, s1, 9
	s_add_i32 s0, s0, s22
	v_mul_f32_e32 v4, 0x4f7ffffe, v4
	s_add_i32 s0, s0, s24
	s_lshl_b32 s0, s0, 7
	s_add_i32 s1, s1, s0
	s_lshl_b32 s0, s6, 5
	v_or_b32_e32 v1, s1, v0
	s_add_i32 s0, s15, s0
	v_lshl_or_b32 v0, s15, 7, v0
	s_ashr_i32 s1, s0, 31
	v_cvt_u32_f32_e32 v4, v4
	v_ashrrev_i32_e32 v2, 31, v1
	s_lshl_b64 s[0:1], s[0:1], 3
	s_add_u32 s0, s18, s0
	s_addc_u32 s1, s19, s1
	v_lshlrev_b64 v[1:2], 2, v[1:2]
	s_load_dwordx2 s[0:1], s[0:1], 0x0
	s_add_i32 s8, s6, -1
	s_sub_i32 s2, 0, s9
	v_add_co_u32 v1, vcc_lo, s16, v1
	v_add_co_ci_u32_e64 v2, null, s17, v2, vcc_lo
	global_load_dword v3, v[1:2], off
	s_waitcnt lgkmcnt(0)
	v_mov_b32_e32 v5, s1
	v_mov_b32_e32 v6, s0
.LBB12_9:                               ; =>This Inner Loop Header: Depth=1
	s_mul_hi_i32 s5, s8, s3
	s_mul_i32 s6, s8, s3
	s_cmp_lg_u64 s[4:5], 0
	s_mov_b32 s7, -1
                                        ; implicit-def: $sgpr0_sgpr1
	s_cbranch_scc0 .LBB12_11
; %bb.10:                               ;   in Loop: Header=BB12_9 Depth=1
	s_add_u32 s0, s9, 0
	s_addc_u32 s1, 0, 0
	s_xor_b64 s[0:1], s[0:1], 0
	v_cvt_f32_u32_e32 v7, s0
	v_cvt_f32_u32_e32 v8, s1
	s_sub_u32 s17, 0, s0
	s_subb_u32 s22, 0, s1
	v_fmac_f32_e32 v7, 0x4f800000, v8
	v_rcp_f32_e32 v7, v7
	v_mul_f32_e32 v7, 0x5f7ffffc, v7
	v_mul_f32_e32 v8, 0x2f800000, v7
	v_trunc_f32_e32 v8, v8
	v_fmac_f32_e32 v7, 0xcf800000, v8
	v_cvt_u32_f32_e32 v8, v8
	v_cvt_u32_f32_e32 v7, v7
	v_readfirstlane_b32 s7, v8
	v_readfirstlane_b32 s16, v7
	s_mul_i32 s23, s17, s7
	s_mul_hi_u32 s25, s17, s16
	s_mul_i32 s24, s22, s16
	s_add_i32 s23, s25, s23
	s_mul_i32 s26, s17, s16
	s_add_i32 s23, s23, s24
	s_mul_hi_u32 s25, s16, s26
	s_mul_i32 s28, s16, s23
	s_mul_hi_u32 s27, s7, s26
	s_mul_i32 s24, s7, s26
	s_mul_hi_u32 s26, s16, s23
	s_add_u32 s25, s25, s28
	s_addc_u32 s26, 0, s26
	s_mul_hi_u32 s29, s7, s23
	s_add_u32 s24, s25, s24
	s_mul_i32 s23, s7, s23
	s_addc_u32 s24, s26, s27
	s_addc_u32 s25, s29, 0
	s_add_u32 s23, s24, s23
	s_addc_u32 s24, 0, s25
	s_add_u32 s16, s16, s23
	s_cselect_b32 s23, -1, 0
	s_mul_hi_u32 s25, s17, s16
	s_cmp_lg_u32 s23, 0
	s_mul_i32 s23, s17, s16
	s_addc_u32 s7, s7, s24
	s_mul_i32 s22, s22, s16
	s_mul_i32 s17, s17, s7
	s_mul_hi_u32 s24, s16, s23
	s_add_i32 s17, s25, s17
	s_mul_hi_u32 s25, s7, s23
	s_add_i32 s17, s17, s22
	s_mul_i32 s22, s7, s23
	s_mul_i32 s27, s16, s17
	s_mul_hi_u32 s26, s16, s17
	s_add_u32 s24, s24, s27
	s_addc_u32 s26, 0, s26
	s_mul_hi_u32 s23, s7, s17
	s_add_u32 s22, s24, s22
	s_mul_i32 s17, s7, s17
	s_addc_u32 s22, s26, s25
	s_addc_u32 s23, s23, 0
	s_add_u32 s17, s22, s17
	s_addc_u32 s22, 0, s23
	s_add_u32 s24, s16, s17
	s_cselect_b32 s16, -1, 0
	s_cmp_lg_u32 s16, 0
	s_addc_u32 s7, s7, s22
	s_ashr_i32 s16, s5, 31
	s_add_u32 s22, s6, s16
	s_mov_b32 s17, s16
	s_addc_u32 s23, s5, s16
	s_xor_b64 s[22:23], s[22:23], s[16:17]
	s_mul_i32 s25, s22, s7
	s_mul_hi_u32 s26, s22, s24
	s_mul_hi_u32 s5, s22, s7
	;; [unrolled: 1-line block ×3, first 2 shown]
	s_mul_i32 s24, s23, s24
	s_add_u32 s25, s26, s25
	s_addc_u32 s5, 0, s5
	s_mul_hi_u32 s27, s23, s7
	s_add_u32 s24, s25, s24
	s_mul_i32 s7, s23, s7
	s_addc_u32 s5, s5, s28
	s_addc_u32 s24, s27, 0
	s_add_u32 s5, s5, s7
	s_addc_u32 s7, 0, s24
	s_mul_hi_u32 s24, s0, s5
	s_mul_i32 s25, s0, s7
	s_mul_i32 s26, s1, s5
	s_add_i32 s24, s24, s25
	s_mul_i32 s25, s0, s5
	s_add_i32 s24, s24, s26
	s_sub_i32 s26, s23, s24
	s_sub_u32 s22, s22, s25
	s_cselect_b32 s25, -1, 0
	s_cmp_lg_u32 s25, 0
	s_subb_u32 s26, s26, s1
	s_sub_u32 s27, s22, s0
	s_cselect_b32 s28, -1, 0
	s_cmp_lg_u32 s28, 0
	s_subb_u32 s26, s26, 0
	s_cmp_ge_u32 s26, s1
	s_cselect_b32 s28, -1, 0
	s_cmp_ge_u32 s27, s0
	s_cselect_b32 s27, -1, 0
	s_cmp_eq_u32 s26, s1
	s_cselect_b32 s26, s27, s28
	s_add_u32 s27, s5, 1
	s_addc_u32 s28, s7, 0
	s_add_u32 s29, s5, 2
	s_addc_u32 s30, s7, 0
	s_cmp_lg_u32 s26, 0
	s_cselect_b32 s26, s29, s27
	s_cselect_b32 s27, s30, s28
	s_cmp_lg_u32 s25, 0
	s_subb_u32 s23, s23, s24
	s_cmp_ge_u32 s23, s1
	s_cselect_b32 s24, -1, 0
	s_cmp_ge_u32 s22, s0
	s_cselect_b32 s0, -1, 0
	s_cmp_eq_u32 s23, s1
	s_cselect_b32 s0, s0, s24
	s_cmp_lg_u32 s0, 0
	s_cselect_b32 s1, s27, s7
	s_cselect_b32 s0, s26, s5
	s_xor_b64 s[16:17], s[16:17], 0
	s_mov_b32 s7, 0
	s_xor_b64 s[0:1], s[0:1], s[16:17]
	s_sub_u32 s0, s0, s16
.LBB12_11:                              ;   in Loop: Header=BB12_9 Depth=1
	s_andn2_b32 vcc_lo, exec_lo, s7
	s_cbranch_vccnz .LBB12_13
; %bb.12:                               ;   in Loop: Header=BB12_9 Depth=1
	v_readfirstlane_b32 s0, v4
	s_mul_i32 s1, s2, s0
	s_mul_hi_u32 s1, s0, s1
	s_add_i32 s0, s0, s1
	s_mul_hi_u32 s0, s6, s0
	s_mul_i32 s1, s0, s9
	s_add_i32 s5, s0, 1
	s_sub_i32 s1, s6, s1
	s_sub_i32 s6, s1, s9
	s_cmp_ge_u32 s1, s9
	s_cselect_b32 s0, s5, s0
	s_cselect_b32 s1, s6, s1
	s_add_i32 s5, s0, 1
	s_cmp_ge_u32 s1, s9
	s_cselect_b32 s0, s5, s0
.LBB12_13:                              ;   in Loop: Header=BB12_9 Depth=1
	s_cmp_lg_u32 s10, s0
	s_mov_b32 s6, -1
                                        ; implicit-def: $sgpr5
                                        ; implicit-def: $vgpr8
                                        ; implicit-def: $vgpr7
                                        ; implicit-def: $vgpr9
                                        ; implicit-def: $sgpr1
                                        ; implicit-def: $sgpr16
	s_cbranch_scc0 .LBB12_18
; %bb.14:                               ;   in Loop: Header=BB12_9 Depth=1
	s_add_i32 s1, s8, s9
	s_mov_b32 s7, s4
	s_lshl_b32 s1, s1, 5
	s_mov_b32 s16, s10
	s_add_i32 s6, s1, s15
	s_mul_hi_u32 s1, s0, s12
	s_lshl_b64 s[6:7], s[6:7], 3
	s_add_u32 s6, s18, s6
	s_addc_u32 s7, s19, s7
	s_add_i32 s1, s1, s0
	s_lshr_b32 s1, s1, s13
	s_mul_i32 s5, s1, s14
	s_cmp_eq_u32 s5, s0
	s_cselect_b32 s5, -1, 0
	s_cmp_lt_u32 s1, s11
	s_cselect_b32 s1, -1, 0
	s_or_b32 s1, s1, s5
	s_mov_b32 s5, -1
	s_and_b32 vcc_lo, exec_lo, s1
	s_mov_b32 s1, s8
	s_cbranch_vccnz .LBB12_16
; %bb.15:                               ;   in Loop: Header=BB12_9 Depth=1
	s_add_i32 s1, s8, -1
	s_mov_b32 s5, 0
	s_mov_b32 s16, s0
.LBB12_16:                              ;   in Loop: Header=BB12_9 Depth=1
	v_lshl_add_u32 v7, s8, 12, v0
	s_load_dwordx2 s[6:7], s[6:7], 0x0
	v_ashrrev_i32_e32 v8, 31, v7
	v_lshlrev_b64 v[7:8], 2, v[7:8]
	v_add_co_u32 v7, vcc_lo, s20, v7
	v_add_co_ci_u32_e64 v8, null, s21, v8, vcc_lo
	s_waitcnt lgkmcnt(0)
	v_max_f32_e64 v9, s6, s6
	global_load_dword v8, v[7:8], off
	v_max_f32_e32 v7, v6, v6
	v_max_f32_e32 v7, v7, v9
	v_sub_f32_e32 v9, s6, v7
	v_sub_f32_e32 v10, v6, v7
	v_mul_f32_e32 v11, 0x3fb8aa3b, v9
	v_mul_f32_e32 v12, 0x3fb8aa3b, v10
	v_cmp_ngt_f32_e32 vcc_lo, 0xc2ce8ed0, v9
	v_fma_f32 v13, 0x3fb8aa3b, v9, -v11
	v_rndne_f32_e32 v14, v11
	v_fma_f32 v15, 0x3fb8aa3b, v10, -v12
	v_rndne_f32_e32 v16, v12
	v_fmac_f32_e32 v13, 0x32a5705f, v9
	v_sub_f32_e32 v11, v11, v14
	v_fmac_f32_e32 v15, 0x32a5705f, v10
	v_sub_f32_e32 v12, v12, v16
	v_add_f32_e32 v11, v11, v13
	v_cvt_i32_f32_e32 v13, v14
	v_add_f32_e32 v12, v12, v15
	v_cvt_i32_f32_e32 v14, v16
	v_exp_f32_e32 v11, v11
	v_exp_f32_e32 v12, v12
	v_ldexp_f32 v11, v11, v13
	v_ldexp_f32 v12, v12, v14
	v_cndmask_b32_e32 v11, 0, v11, vcc_lo
	v_cmp_ngt_f32_e32 vcc_lo, 0xc2ce8ed0, v10
	v_cndmask_b32_e32 v12, 0, v12, vcc_lo
	v_cmp_nlt_f32_e32 vcc_lo, 0x42b17218, v9
	v_cndmask_b32_e32 v11, 0x7f800000, v11, vcc_lo
	v_cmp_nlt_f32_e32 vcc_lo, 0x42b17218, v10
	v_cndmask_b32_e32 v12, 0x7f800000, v12, vcc_lo
	v_cmp_le_f32_e32 vcc_lo, 0xc1a00000, v9
	v_cndmask_b32_e32 v9, 0, v11, vcc_lo
	v_cmp_le_f32_e32 vcc_lo, 0xc1a00000, v10
	v_cndmask_b32_e32 v10, 0, v12, vcc_lo
	s_waitcnt vmcnt(0)
	v_mul_f32_e32 v8, v8, v9
	v_mul_f32_e32 v9, s7, v9
	v_fmac_f32_e32 v8, v3, v10
	v_fmac_f32_e32 v9, v5, v10
	s_cbranch_execz .LBB12_19
.LBB12_17:                              ;   in Loop: Header=BB12_9 Depth=1
	s_andn2_b32 vcc_lo, exec_lo, s5
	s_cbranch_vccnz .LBB12_20
	s_branch .LBB12_23
.LBB12_18:                              ;   in Loop: Header=BB12_9 Depth=1
	s_andn2_b32 vcc_lo, exec_lo, s6
	s_cbranch_vccnz .LBB12_17
.LBB12_19:                              ;   in Loop: Header=BB12_9 Depth=1
	v_mov_b32_e32 v9, v5
	v_mov_b32_e32 v7, v6
	s_waitcnt vmcnt(0)
	v_mov_b32_e32 v8, v3
	s_add_i32 s1, s8, -1
	s_mov_b32 s16, s10
	s_cbranch_execz .LBB12_23
.LBB12_20:                              ;   in Loop: Header=BB12_9 Depth=1
	v_mov_b32_e32 v5, v9
	v_mov_b32_e32 v6, v7
	s_waitcnt vmcnt(0)
	v_mov_b32_e32 v3, v8
	s_mov_b32 s10, s16
	s_mov_b32 s8, s1
	s_branch .LBB12_9
.LBB12_21:
                                        ; implicit-def: $sgpr10_sgpr11
	s_load_dwordx4 s[12:15], s[4:5], 0x44
	s_branch .LBB12_2
.LBB12_22:
                                        ; implicit-def: $sgpr18_sgpr19
	s_branch .LBB12_5
.LBB12_23:
	v_div_scale_f32 v0, null, v9, v9, v8
	s_waitcnt vmcnt(0)
	v_rcp_f32_e32 v3, v0
	v_fma_f32 v4, -v0, v3, 1.0
	v_fmac_f32_e32 v3, v4, v3
	v_div_scale_f32 v4, vcc_lo, v8, v9, v8
	v_mul_f32_e32 v5, v4, v3
	v_fma_f32 v6, -v0, v5, v4
	v_fmac_f32_e32 v5, v6, v3
	v_fma_f32 v0, -v0, v5, v4
	v_div_fmas_f32 v0, v0, v3, v5
	v_div_fixup_f32 v0, v0, v9, v8
	global_store_dword v[1:2], v0, off
.LBB12_24:
	s_endpgm
	.section	.rodata,"a",@progbits
	.p2align	6, 0x0
	.amdhsa_kernel _ZL33flash_attn_stream_k_fixup_generalILi128ELi4ELi8EEvPfPK15HIP_vector_typeIfLj2EEiiiiS1_IjLj3EES5_S5_S5_
		.amdhsa_group_segment_fixed_size 0
		.amdhsa_private_segment_fixed_size 0
		.amdhsa_kernarg_size 336
		.amdhsa_user_sgpr_count 6
		.amdhsa_user_sgpr_private_segment_buffer 1
		.amdhsa_user_sgpr_dispatch_ptr 0
		.amdhsa_user_sgpr_queue_ptr 0
		.amdhsa_user_sgpr_kernarg_segment_ptr 1
		.amdhsa_user_sgpr_dispatch_id 0
		.amdhsa_user_sgpr_flat_scratch_init 0
		.amdhsa_user_sgpr_private_segment_size 0
		.amdhsa_wavefront_size32 1
		.amdhsa_uses_dynamic_stack 0
		.amdhsa_system_sgpr_private_segment_wavefront_offset 0
		.amdhsa_system_sgpr_workgroup_id_x 1
		.amdhsa_system_sgpr_workgroup_id_y 1
		.amdhsa_system_sgpr_workgroup_id_z 1
		.amdhsa_system_sgpr_workgroup_info 0
		.amdhsa_system_vgpr_workitem_id 0
		.amdhsa_next_free_vgpr 17
		.amdhsa_next_free_sgpr 31
		.amdhsa_reserve_vcc 1
		.amdhsa_reserve_flat_scratch 0
		.amdhsa_float_round_mode_32 0
		.amdhsa_float_round_mode_16_64 0
		.amdhsa_float_denorm_mode_32 3
		.amdhsa_float_denorm_mode_16_64 3
		.amdhsa_dx10_clamp 1
		.amdhsa_ieee_mode 1
		.amdhsa_fp16_overflow 0
		.amdhsa_workgroup_processor_mode 1
		.amdhsa_memory_ordered 1
		.amdhsa_forward_progress 1
		.amdhsa_shared_vgpr_count 0
		.amdhsa_exception_fp_ieee_invalid_op 0
		.amdhsa_exception_fp_denorm_src 0
		.amdhsa_exception_fp_ieee_div_zero 0
		.amdhsa_exception_fp_ieee_overflow 0
		.amdhsa_exception_fp_ieee_underflow 0
		.amdhsa_exception_fp_ieee_inexact 0
		.amdhsa_exception_int_div_zero 0
	.end_amdhsa_kernel
	.section	.text._ZL33flash_attn_stream_k_fixup_generalILi128ELi4ELi8EEvPfPK15HIP_vector_typeIfLj2EEiiiiS1_IjLj3EES5_S5_S5_,"axG",@progbits,_ZL33flash_attn_stream_k_fixup_generalILi128ELi4ELi8EEvPfPK15HIP_vector_typeIfLj2EEiiiiS1_IjLj3EES5_S5_S5_,comdat
.Lfunc_end12:
	.size	_ZL33flash_attn_stream_k_fixup_generalILi128ELi4ELi8EEvPfPK15HIP_vector_typeIfLj2EEiiiiS1_IjLj3EES5_S5_S5_, .Lfunc_end12-_ZL33flash_attn_stream_k_fixup_generalILi128ELi4ELi8EEvPfPK15HIP_vector_typeIfLj2EEiiiiS1_IjLj3EES5_S5_S5_
                                        ; -- End function
	.set _ZL33flash_attn_stream_k_fixup_generalILi128ELi4ELi8EEvPfPK15HIP_vector_typeIfLj2EEiiiiS1_IjLj3EES5_S5_S5_.num_vgpr, 17
	.set _ZL33flash_attn_stream_k_fixup_generalILi128ELi4ELi8EEvPfPK15HIP_vector_typeIfLj2EEiiiiS1_IjLj3EES5_S5_S5_.num_agpr, 0
	.set _ZL33flash_attn_stream_k_fixup_generalILi128ELi4ELi8EEvPfPK15HIP_vector_typeIfLj2EEiiiiS1_IjLj3EES5_S5_S5_.numbered_sgpr, 31
	.set _ZL33flash_attn_stream_k_fixup_generalILi128ELi4ELi8EEvPfPK15HIP_vector_typeIfLj2EEiiiiS1_IjLj3EES5_S5_S5_.num_named_barrier, 0
	.set _ZL33flash_attn_stream_k_fixup_generalILi128ELi4ELi8EEvPfPK15HIP_vector_typeIfLj2EEiiiiS1_IjLj3EES5_S5_S5_.private_seg_size, 0
	.set _ZL33flash_attn_stream_k_fixup_generalILi128ELi4ELi8EEvPfPK15HIP_vector_typeIfLj2EEiiiiS1_IjLj3EES5_S5_S5_.uses_vcc, 1
	.set _ZL33flash_attn_stream_k_fixup_generalILi128ELi4ELi8EEvPfPK15HIP_vector_typeIfLj2EEiiiiS1_IjLj3EES5_S5_S5_.uses_flat_scratch, 0
	.set _ZL33flash_attn_stream_k_fixup_generalILi128ELi4ELi8EEvPfPK15HIP_vector_typeIfLj2EEiiiiS1_IjLj3EES5_S5_S5_.has_dyn_sized_stack, 0
	.set _ZL33flash_attn_stream_k_fixup_generalILi128ELi4ELi8EEvPfPK15HIP_vector_typeIfLj2EEiiiiS1_IjLj3EES5_S5_S5_.has_recursion, 0
	.set _ZL33flash_attn_stream_k_fixup_generalILi128ELi4ELi8EEvPfPK15HIP_vector_typeIfLj2EEiiiiS1_IjLj3EES5_S5_S5_.has_indirect_call, 0
	.section	.AMDGPU.csdata,"",@progbits
; Kernel info:
; codeLenInByte = 2944
; TotalNumSgprs: 33
; NumVgprs: 17
; ScratchSize: 0
; MemoryBound: 0
; FloatMode: 240
; IeeeMode: 1
; LDSByteSize: 0 bytes/workgroup (compile time only)
; SGPRBlocks: 0
; VGPRBlocks: 2
; NumSGPRsForWavesPerEU: 33
; NumVGPRsForWavesPerEU: 17
; Occupancy: 16
; WaveLimiterHint : 0
; COMPUTE_PGM_RSRC2:SCRATCH_EN: 0
; COMPUTE_PGM_RSRC2:USER_SGPR: 6
; COMPUTE_PGM_RSRC2:TRAP_HANDLER: 0
; COMPUTE_PGM_RSRC2:TGID_X_EN: 1
; COMPUTE_PGM_RSRC2:TGID_Y_EN: 1
; COMPUTE_PGM_RSRC2:TGID_Z_EN: 1
; COMPUTE_PGM_RSRC2:TIDIG_COMP_CNT: 0
	.section	.text._ZL15flash_attn_tileILi192ELi128ELi2ELi8ELb0EEvPKcS1_S1_S1_S1_PKiPfP15HIP_vector_typeIfLj2EEffffjfiS5_IjLj3EEiiiiiiiiiiiliiliiiiil,"axG",@progbits,_ZL15flash_attn_tileILi192ELi128ELi2ELi8ELb0EEvPKcS1_S1_S1_S1_PKiPfP15HIP_vector_typeIfLj2EEffffjfiS5_IjLj3EEiiiiiiiiiiiliiliiiiil,comdat
	.globl	_ZL15flash_attn_tileILi192ELi128ELi2ELi8ELb0EEvPKcS1_S1_S1_S1_PKiPfP15HIP_vector_typeIfLj2EEffffjfiS5_IjLj3EEiiiiiiiiiiiliiliiiiil ; -- Begin function _ZL15flash_attn_tileILi192ELi128ELi2ELi8ELb0EEvPKcS1_S1_S1_S1_PKiPfP15HIP_vector_typeIfLj2EEffffjfiS5_IjLj3EEiiiiiiiiiiiliiliiiiil
	.p2align	8
	.type	_ZL15flash_attn_tileILi192ELi128ELi2ELi8ELb0EEvPKcS1_S1_S1_S1_PKiPfP15HIP_vector_typeIfLj2EEffffjfiS5_IjLj3EEiiiiiiiiiiiliiliiiiil,@function
_ZL15flash_attn_tileILi192ELi128ELi2ELi8ELb0EEvPKcS1_S1_S1_S1_PKiPfP15HIP_vector_typeIfLj2EEffffjfiS5_IjLj3EEiiiiiiiiiiiliiliiiiil: ; @_ZL15flash_attn_tileILi192ELi128ELi2ELi8ELb0EEvPKcS1_S1_S1_S1_PKiPfP15HIP_vector_typeIfLj2EEffffjfiS5_IjLj3EEiiiiiiiiiiiliiliiiiil
; %bb.0:
	s_clause 0x1
	s_load_dwordx4 s[0:3], s[4:5], 0x5c
	s_load_dwordx2 s[30:31], s[4:5], 0x80
	s_mov_b32 s28, s7
	s_mov_b64 s[34:35], 0
	s_waitcnt lgkmcnt(0)
	s_ashr_i32 s7, s3, 31
	s_lshr_b32 s7, s7, 29
	s_add_i32 s7, s3, s7
	s_ashr_i32 s7, s7, 3
	v_cvt_f32_u32_e32 v2, s7
	s_sub_i32 s10, 0, s7
	v_rcp_iflag_f32_e32 v2, v2
	v_mul_f32_e32 v2, 0x4f7ffffe, v2
	v_cvt_u32_f32_e32 v2, v2
	v_readfirstlane_b32 s9, v2
	s_mul_i32 s10, s10, s9
	s_mul_hi_u32 s10, s9, s10
	s_add_i32 s9, s9, s10
	s_mul_hi_u32 s9, s8, s9
	s_mul_i32 s10, s9, s7
	s_add_i32 s11, s9, 1
	s_sub_i32 s10, s8, s10
	s_sub_i32 s12, s10, s7
	s_cmp_ge_u32 s10, s7
	s_cselect_b32 s9, s11, s9
	s_cselect_b32 s10, s12, s10
	s_add_i32 s11, s9, 1
	s_cmp_ge_u32 s10, s7
	s_cselect_b32 s29, s11, s9
	s_abs_i32 s7, s31
	s_lshl_b32 s8, s8, 3
	v_cvt_f32_u32_e32 v2, s7
	s_sub_i32 s10, 0, s7
	s_mul_i32 s11, s29, s3
	s_abs_i32 s12, s3
	s_sub_i32 s33, s8, s11
	v_rcp_iflag_f32_e32 v2, v2
	v_mul_f32_e32 v2, 0x4f7ffffe, v2
	v_cvt_u32_f32_e32 v2, v2
	v_readfirstlane_b32 s9, v2
	s_mul_i32 s10, s10, s9
	s_mul_hi_u32 s10, s9, s10
	s_add_i32 s9, s9, s10
	s_mul_hi_u32 s8, s12, s9
	s_xor_b32 s9, s3, s31
	s_mul_i32 s10, s8, s7
	s_ashr_i32 s9, s9, 31
	s_sub_i32 s10, s12, s10
	s_add_i32 s11, s8, 1
	s_sub_i32 s12, s10, s7
	s_cmp_ge_u32 s10, s7
	s_cselect_b32 s8, s11, s8
	s_cselect_b32 s10, s12, s10
	s_add_i32 s11, s8, 1
	s_cmp_ge_u32 s10, s7
	s_cselect_b32 s7, s11, s8
	s_xor_b32 s7, s7, s9
	s_sub_i32 s31, s7, s9
	s_clause 0x1
	s_load_dwordx16 s[8:23], s[4:5], 0x0
	s_load_dwordx2 s[36:37], s[4:5], 0xb8
	s_abs_i32 s7, s31
	v_cvt_f32_u32_e32 v2, s7
	v_rcp_iflag_f32_e32 v2, v2
	v_mul_f32_e32 v2, 0x4f7ffffe, v2
	s_waitcnt lgkmcnt(0)
	s_cmp_eq_u64 s[14:15], 0
	v_cvt_u32_f32_e32 v2, v2
	v_readfirstlane_b32 s38, v2
	s_cbranch_scc1 .LBB13_2
; %bb.1:
	s_abs_i32 s26, s36
	s_abs_i32 s27, s29
	v_cvt_f32_u32_e32 v2, s26
	s_sub_i32 s25, 0, s26
	v_rcp_iflag_f32_e32 v2, v2
	v_mul_f32_e32 v2, 0x4f7ffffe, v2
	v_cvt_u32_f32_e32 v2, v2
	v_readfirstlane_b32 s24, v2
	s_mul_i32 s25, s25, s24
	s_mul_hi_u32 s25, s24, s25
	s_add_i32 s24, s24, s25
	s_mul_hi_u32 s34, s27, s24
	s_load_dwordx2 s[24:25], s[4:5], 0xc8
	s_mul_i32 s34, s34, s26
	s_sub_i32 s27, s27, s34
	s_ashr_i32 s34, s29, 31
	s_sub_i32 s35, s27, s26
	s_cmp_ge_u32 s27, s26
	s_cselect_b32 s27, s35, s27
	s_sub_i32 s35, s27, s26
	s_cmp_ge_u32 s27, s26
	s_cselect_b32 s26, s35, s27
	s_xor_b32 s26, s26, s34
	s_sub_i32 s26, s26, s34
	s_ashr_i32 s27, s26, 31
	s_waitcnt lgkmcnt(0)
	s_mul_hi_u32 s34, s24, s26
	s_mul_i32 s27, s24, s27
	s_mul_i32 s25, s25, s26
	s_add_i32 s27, s34, s27
	s_mul_i32 s24, s24, s26
	s_add_i32 s27, s27, s25
	s_add_u32 s34, s14, s24
	s_addc_u32 s35, s15, s27
.LBB13_2:
	v_lshrrev_b32_e32 v2, 2, v1
	s_load_dwordx4 s[24:27], s[4:5], 0x70
	v_lshlrev_b32_e32 v6, 1, v1
	v_lshl_add_u32 v2, s6, 1, v2
	v_and_b32_e32 v10, 6, v6
	v_mul_hi_u32 v3, s0, v2
	v_add_nc_u32_e32 v3, v2, v3
	s_waitcnt lgkmcnt(0)
	s_mul_i32 s0, s29, s26
	s_mov_b32 s14, s25
	v_lshrrev_b32_e32 v3, s1, v3
	s_mul_i32 s1, s33, s25
	s_ashr_i32 s15, s0, 31
	s_add_u32 s0, s8, s0
	s_addc_u32 s8, s9, s15
	v_mul_lo_u32 v3, v3, s2
	s_ashr_i32 s9, s1, 31
	s_add_u32 s26, s0, s1
	s_addc_u32 s8, s8, s9
	s_ashr_i32 s15, s25, 31
	s_ashr_i32 s25, s24, 31
	s_lshr_b64 s[0:1], s[24:25], 2
	v_sub_nc_u32_e32 v5, v2, v3
	s_lshr_b32 s9, s25, 2
	v_mad_u64_u32 v[3:4], null, s0, v5, 0
	s_lshr_b64 s[0:1], s[14:15], 2
	v_mad_u64_u32 v[7:8], null, s0, v10, 0
	v_mad_u64_u32 v[11:12], null, s9, v5, v[4:5]
	s_lshr_b32 s9, s15, 2
	v_mad_u64_u32 v[8:9], null, s9, v10, v[8:9]
	v_lshlrev_b32_e32 v9, 4, v0
	v_mov_b32_e32 v4, v11
	v_lshlrev_b64 v[3:4], 2, v[3:4]
	v_add_co_u32 v11, vcc_lo, s26, v3
	v_add_co_ci_u32_e64 v12, null, s8, v4, vcc_lo
	v_lshlrev_b64 v[3:4], 2, v[7:8]
	v_add_co_u32 v9, vcc_lo, v11, v9
	v_add_co_ci_u32_e64 v11, null, 0, v12, vcc_lo
	s_load_dword s8, s[4:5], 0x40
	v_add_co_u32 v3, vcc_lo, v9, v3
	v_add_co_ci_u32_e64 v4, null, v11, v4, vcc_lo
	v_cmp_gt_u32_e32 vcc_lo, 16, v0
	global_load_dwordx4 v[12:15], v[3:4], off
	s_waitcnt vmcnt(0) lgkmcnt(0)
	v_fma_mixlo_f16 v7, s8, v13, 0
	v_fma_mixlo_f16 v8, s8, v12, 0
	v_fma_mixlo_f16 v12, s8, v14, 0
	v_fma_mixlo_f16 v13, s8, v15, 0
	v_lshlrev_b32_e32 v14, 16, v7
	v_and_b32_e32 v8, 0xffff, v8
	v_lshlrev_b32_e32 v7, 3, v0
	v_lshlrev_b32_e32 v13, 16, v13
	v_and_b32_e32 v12, 0xffff, v12
	v_or_b32_e32 v14, v14, v8
	v_mul_u32_u24_e32 v8, 0x300, v1
	v_mad_u32_u24 v15, 0x300, v1, v7
	v_or3_b32 v13, v13, v12, 0
	v_or3_b32 v12, 0, 0, v14
	ds_write_b64 v15, v[12:13]
	s_and_saveexec_b32 s9, vcc_lo
	s_cbranch_execz .LBB13_4
; %bb.3:
	global_load_dwordx4 v[12:15], v[3:4], off offset:512
	s_waitcnt vmcnt(0)
	v_fma_mixlo_f16 v3, s8, v13, 0
	v_fma_mixlo_f16 v4, s8, v12, 0
	;; [unrolled: 1-line block ×4, first 2 shown]
	v_lshlrev_b32_e32 v3, 16, v3
	v_and_b32_e32 v4, 0xffff, v4
	v_and_b32_e32 v12, 0xffff, v12
	v_lshlrev_b32_e32 v13, 16, v13
	v_or_b32_e32 v3, v3, v4
	v_or3_b32 v4, v13, v12, 0
	v_add_nc_u32_e32 v12, v7, v8
	v_or3_b32 v3, 0, 0, v3
	ds_write_b64 v12, v[3:4] offset:256
.LBB13_4:
	s_or_b32 exec_lo, exec_lo, s9
	v_or_b32_e32 v12, 1, v6
	v_and_b32_e32 v13, 7, v12
	v_mad_u64_u32 v[3:4], null, s0, v13, 0
	v_mad_u64_u32 v[13:14], null, s1, v13, v[4:5]
	v_mov_b32_e32 v4, v13
	v_lshlrev_b64 v[3:4], 2, v[3:4]
	v_add_co_u32 v3, s0, v9, v3
	v_add_co_ci_u32_e64 v4, null, v11, v4, s0
	global_load_dwordx4 v[13:16], v[3:4], off
	s_waitcnt vmcnt(0)
	v_fma_mixlo_f16 v9, s8, v14, 0
	v_fma_mixlo_f16 v11, s8, v13, 0
	;; [unrolled: 1-line block ×4, first 2 shown]
	v_lshlrev_b32_e32 v9, 16, v9
	v_and_b32_e32 v11, 0xffff, v11
	v_and_b32_e32 v13, 0xffff, v13
	v_lshlrev_b32_e32 v14, 16, v14
	v_or_b32_e32 v9, v9, v11
	v_mad_u32_u24 v11, 0x180, v12, v7
	v_or3_b32 v14, v14, v13, 0
	v_or3_b32 v13, 0, 0, v9
	ds_write_b64 v11, v[13:14]
	s_and_saveexec_b32 s0, vcc_lo
	s_cbranch_execz .LBB13_6
; %bb.5:
	global_load_dwordx4 v[13:16], v[3:4], off offset:512
	v_mul_u32_u24_e32 v12, 0x180, v12
	s_waitcnt vmcnt(0)
	v_fma_mixlo_f16 v3, s8, v14, 0
	v_fma_mixlo_f16 v4, s8, v13, 0
	;; [unrolled: 1-line block ×4, first 2 shown]
	v_lshlrev_b32_e32 v3, 16, v3
	v_and_b32_e32 v4, 0xffff, v4
	v_and_b32_e32 v9, 0xffff, v9
	v_lshlrev_b32_e32 v11, 16, v11
	v_or_b32_e32 v3, v3, v4
	v_or3_b32 v4, v11, v9, 0
	v_add_nc_u32_e32 v9, v7, v12
	v_or3_b32 v3, 0, 0, v3
	ds_write_b64 v9, v[3:4] offset:256
.LBB13_6:
	s_or_b32 exec_lo, exec_lo, s0
	s_cmp_eq_u64 s[18:19], 0
	s_waitcnt lgkmcnt(0)
	s_barrier
	buffer_gl0_inv
	s_cbranch_scc1 .LBB13_8
; %bb.7:
	s_load_dword s0, s[4:5], 0xd0
	s_mov_b32 s1, 0
	s_waitcnt lgkmcnt(0)
	s_mul_i32 s0, s0, s29
	s_add_i32 s0, s0, s6
	s_lshl_b64 s[0:1], s[0:1], 2
	s_add_u32 s0, s18, s0
	s_addc_u32 s1, s19, s1
	s_load_dword s30, s[0:1], 0x0
.LBB13_8:
	v_mbcnt_lo_u32_b32 v9, -1, 0
	s_lshl_b32 s14, s28, 5
	s_waitcnt lgkmcnt(0)
	s_cmp_lt_i32 s14, s30
	s_cbranch_scc1 .LBB13_11
; %bb.9:
	v_mbcnt_lo_u32_b32 v3, -1, 0
	v_mov_b32_e32 v12, 32
	v_xor_b32_e32 v17, 16, v3
	v_xor_b32_e32 v16, 8, v3
	;; [unrolled: 1-line block ×5, first 2 shown]
	v_lshlrev_b32_e32 v11, 2, v0
	s_cbranch_execz .LBB13_12
; %bb.10:
	v_mov_b32_e32 v32, 0
	v_mov_b32_e32 v1, 0
	;; [unrolled: 1-line block ×8, first 2 shown]
	s_branch .LBB13_15
.LBB13_11:
                                        ; implicit-def: $vgpr3
                                        ; implicit-def: $vgpr12
                                        ; implicit-def: $vgpr17
                                        ; implicit-def: $vgpr16
                                        ; implicit-def: $vgpr15
                                        ; implicit-def: $vgpr14
                                        ; implicit-def: $vgpr13
	v_lshlrev_b32_e32 v11, 2, v0
.LBB13_12:
	s_clause 0x1
	s_load_dwordx4 s[24:27], s[4:5], 0x98
	s_load_dwordx2 s[0:1], s[4:5], 0x8c
	s_sub_i32 s6, 0, s7
	s_abs_i32 s19, s33
	s_mul_i32 s6, s6, s38
	v_lshrrev_b32_e32 v3, 3, v0
	s_mul_hi_u32 s6, s38, s6
	s_ashr_i32 s36, s33, 31
	s_add_i32 s38, s38, s6
	s_ashr_i32 s6, s37, 1
	s_mul_hi_u32 s37, s19, s38
	s_ashr_i32 s38, s29, 31
	v_lshl_add_u32 v12, v1, 2, v3
	s_ashr_i32 s31, s31, 31
	s_mul_i32 s39, s37, s7
	s_load_dwordx2 s[8:9], s[4:5], 0xa8
	v_lshrrev_b32_e32 v13, 4, v0
	v_mul_u32_u24_e32 v15, 0x90, v12
	v_and_b32_e32 v14, 28, v11
	v_lshl_add_u32 v22, v1, 7, 0x2a00
	s_waitcnt lgkmcnt(0)
	s_ashr_i32 s15, s26, 2
	s_ashr_i32 s18, s0, 2
	s_mul_hi_u32 s0, s24, s29
	s_mul_i32 s26, s24, s38
	s_mul_i32 s25, s25, s29
	s_add_i32 s0, s0, s26
	s_mul_i32 s24, s24, s29
	s_add_i32 s0, s0, s25
	s_add_u32 s10, s10, s24
	s_addc_u32 s0, s11, s0
	s_sub_i32 s19, s19, s39
	s_xor_b32 s11, s36, s31
	s_add_i32 s24, s37, 1
	s_sub_i32 s25, s19, s7
	v_mul_lo_u32 v3, s18, v12
	s_cmp_ge_u32 s19, s7
	v_add_nc_u32_e32 v16, v13, v6
	s_cselect_b32 s24, s24, s37
	s_cselect_b32 s19, s25, s19
	s_add_i32 s25, s24, 1
	s_cmp_ge_u32 s19, s7
	v_mul_lo_u32 v12, s15, v16
	s_cselect_b32 s7, s25, s24
	v_ashrrev_i32_e32 v4, 31, v3
	s_xor_b32 s7, s7, s11
	v_lshlrev_b32_e32 v14, 2, v14
	s_sub_i32 s7, s7, s11
	s_mul_hi_u32 s19, s8, s29
	v_lshlrev_b64 v[3:4], 2, v[3:4]
	s_mul_i32 s1, s7, s1
	v_ashrrev_i32_e32 v13, 31, v12
	s_ashr_i32 s11, s1, 31
	s_add_u32 s1, s10, s1
	s_mul_i32 s24, s8, s38
	s_addc_u32 s0, s0, s11
	v_add3_u32 v18, v15, v14, 0x1800
	v_add_co_u32 v3, vcc_lo, s1, v3
	v_and_b32_e32 v15, 60, v11
	s_mul_i32 s9, s9, s29
	s_add_i32 s10, s19, s24
	s_mul_i32 s8, s8, s29
	v_add_co_ci_u32_e64 v4, null, s0, v4, vcc_lo
	v_lshlrev_b64 v[12:13], 2, v[12:13]
	s_add_i32 s10, s10, s9
	s_mul_i32 s7, s7, s27
	s_add_u32 s8, s12, s8
	s_addc_u32 s9, s13, s10
	s_ashr_i32 s10, s7, 31
	v_add_co_u32 v19, vcc_lo, v3, v14
	v_lshlrev_b32_e32 v14, 2, v15
	s_add_u32 s7, s8, s7
	v_add_co_ci_u32_e64 v20, null, 0, v4, vcc_lo
	v_mad_u64_u32 v[3:4], null, v5, s6, v[0:1]
	s_addc_u32 s8, s9, s10
	v_add_co_u32 v4, vcc_lo, s7, v12
	v_lshl_or_b32 v1, v16, 8, v14
	v_add_co_ci_u32_e64 v5, null, s8, v13, vcc_lo
	s_movk_i32 s9, 0x1800
	v_add_co_u32 v24, vcc_lo, v4, v14
	v_mov_b32_e32 v6, 0
	v_mad_u32_u24 v21, 0x90, v0, s9
	v_add_nc_u32_e32 v23, 0x1800, v1
	v_add_co_ci_u32_e64 v25, null, 0, v5, vcc_lo
	v_mov_b32_e32 v4, 0xfeffffff
	v_mov_b32_e32 v30, 0
	;; [unrolled: 1-line block ×3, first 2 shown]
	v_xor_b32_e32 v17, 16, v9
	v_xor_b32_e32 v16, 8, v9
	;; [unrolled: 1-line block ×5, first 2 shown]
	v_add_nc_u32_e32 v26, v22, v11
	v_mov_b32_e32 v27, 0x10001
	v_add_nc_u32_e32 v28, 0x1800, v7
	v_add_nc_u32_e32 v29, 0x2000, v7
	v_mov_b32_e32 v31, 0
	v_mov_b32_e32 v33, 0
	;; [unrolled: 1-line block ×5, first 2 shown]
	s_add_u32 s6, s4, 0xd0
	s_addc_u32 s7, s5, 0
.LBB13_13:                              ; =>This Inner Loop Header: Depth=1
	v_cmp_gt_i32_e32 vcc_lo, 32, v17
	s_mul_hi_i32 s1, s14, s18
	s_mul_i32 s0, s14, s18
	v_mov_b32_e32 v37, 0
	s_lshl_b64 s[0:1], s[0:1], 2
	v_cndmask_b32_e32 v39, v9, v17, vcc_lo
	v_cmp_gt_i32_e32 vcc_lo, 32, v16
	v_mov_b32_e32 v38, 0
	v_mov_b32_e32 v35, v4
	v_add_nc_u32_e32 v4, s14, v3
	v_lshlrev_b32_e32 v55, 2, v39
	v_cndmask_b32_e32 v40, v9, v16, vcc_lo
	v_cmp_gt_i32_e32 vcc_lo, 32, v15
	v_mov_b32_e32 v36, v5
	v_ashrrev_i32_e32 v5, 31, v4
	s_mul_hi_i32 s9, s14, s15
	v_lshlrev_b32_e32 v56, 2, v40
	v_cndmask_b32_e32 v41, v9, v15, vcc_lo
	v_cmp_gt_i32_e32 vcc_lo, 32, v14
	s_mul_i32 s8, s14, s15
	v_lshlrev_b64 v[4:5], 1, v[4:5]
	s_lshl_b64 s[8:9], s[8:9], 2
	v_lshlrev_b32_e32 v57, 2, v41
	v_cndmask_b32_e32 v42, v9, v14, vcc_lo
	v_cmp_gt_i32_e32 vcc_lo, 32, v13
	v_mov_b32_e32 v34, v6
	v_max_f32_e32 v53, v35, v35
	v_max_f32_e32 v54, v36, v36
	v_lshlrev_b32_e32 v58, 2, v42
	v_cndmask_b32_e32 v43, v9, v13, vcc_lo
	v_add_co_u32 v51, vcc_lo, v19, s0
	v_add_co_ci_u32_e64 v52, null, s1, v20, vcc_lo
	v_lshlrev_b32_e32 v59, 2, v43
	v_add_co_u32 v6, vcc_lo, v24, s8
	global_load_dwordx4 v[39:42], v[51:52], off
	v_add_co_ci_u32_e64 v7, null, s9, v25, vcc_lo
	v_add_co_u32 v4, vcc_lo, s34, v4
	v_add_co_ci_u32_e64 v5, null, s35, v5, vcc_lo
	s_waitcnt vmcnt(0)
	ds_write_b128 v18, v[39:42]
	s_waitcnt lgkmcnt(0)
	s_barrier
	buffer_gl0_inv
	ds_read_b128 v[39:42], v21
	ds_read_b128 v[43:46], v8
	ds_read_b128 v[47:50], v8 offset:384
	s_waitcnt lgkmcnt(1)
	;;#ASMSTART
	v_dot2_f32_f16 v37, v39, v43, v37
	;;#ASMEND
	;;#ASMSTART
	v_dot2_f32_f16 v37, v40, v44, v37
	;;#ASMEND
	;;#ASMSTART
	v_dot2_f32_f16 v37, v41, v45, v37
	;;#ASMEND
	;;#ASMSTART
	v_dot2_f32_f16 v37, v42, v46, v37
	;;#ASMEND
	s_waitcnt lgkmcnt(0)
	;;#ASMSTART
	v_dot2_f32_f16 v38, v39, v47, v38
	;;#ASMEND
	;;#ASMSTART
	v_dot2_f32_f16 v38, v40, v48, v38
	;;#ASMEND
	;;#ASMSTART
	v_dot2_f32_f16 v38, v41, v49, v38
	;;#ASMEND
	;;#ASMSTART
	v_dot2_f32_f16 v38, v42, v50, v38
	;;#ASMEND
	ds_read_b128 v[39:42], v21 offset:16
	ds_read_b128 v[43:46], v8 offset:16
	ds_read_b128 v[47:50], v8 offset:400
	s_waitcnt lgkmcnt(1)
	;;#ASMSTART
	v_dot2_f32_f16 v37, v39, v43, v37
	;;#ASMEND
	;;#ASMSTART
	v_dot2_f32_f16 v37, v40, v44, v37
	;;#ASMEND
	;;#ASMSTART
	v_dot2_f32_f16 v37, v41, v45, v37
	;;#ASMEND
	;;#ASMSTART
	v_dot2_f32_f16 v37, v42, v46, v37
	;;#ASMEND
	s_waitcnt lgkmcnt(0)
	;;#ASMSTART
	v_dot2_f32_f16 v38, v39, v47, v38
	;;#ASMEND
	;;#ASMSTART
	v_dot2_f32_f16 v38, v40, v48, v38
	;;#ASMEND
	;;#ASMSTART
	v_dot2_f32_f16 v38, v41, v49, v38
	;;#ASMEND
	;;#ASMSTART
	v_dot2_f32_f16 v38, v42, v50, v38
	;;#ASMEND
	ds_read_b128 v[39:42], v21 offset:32
	ds_read_b128 v[43:46], v8 offset:32
	;; [unrolled: 29-line block ×7, first 2 shown]
	ds_read_b128 v[47:50], v8 offset:496
	s_waitcnt lgkmcnt(1)
	;;#ASMSTART
	v_dot2_f32_f16 v37, v39, v43, v37
	;;#ASMEND
	;;#ASMSTART
	v_dot2_f32_f16 v37, v40, v44, v37
	;;#ASMEND
	;; [unrolled: 3-line block ×4, first 2 shown]
	s_waitcnt lgkmcnt(0)
	;;#ASMSTART
	v_dot2_f32_f16 v38, v39, v47, v38
	;;#ASMEND
	;;#ASMSTART
	v_dot2_f32_f16 v38, v40, v48, v38
	;;#ASMEND
	;; [unrolled: 3-line block ×4, first 2 shown]
	s_barrier
	buffer_gl0_inv
	global_load_dwordx4 v[39:42], v[51:52], off offset:128
	s_waitcnt vmcnt(0)
	ds_write_b128 v18, v[39:42]
	s_waitcnt lgkmcnt(0)
	s_barrier
	buffer_gl0_inv
	ds_read_b128 v[39:42], v21
	ds_read_b128 v[43:46], v8 offset:128
	ds_read_b128 v[47:50], v8 offset:512
	s_waitcnt lgkmcnt(1)
	;;#ASMSTART
	v_dot2_f32_f16 v37, v39, v43, v37
	;;#ASMEND
	;;#ASMSTART
	v_dot2_f32_f16 v37, v40, v44, v37
	;;#ASMEND
	;;#ASMSTART
	v_dot2_f32_f16 v37, v41, v45, v37
	;;#ASMEND
	;;#ASMSTART
	v_dot2_f32_f16 v37, v42, v46, v37
	;;#ASMEND
	s_waitcnt lgkmcnt(0)
	;;#ASMSTART
	v_dot2_f32_f16 v38, v39, v47, v38
	;;#ASMEND
	;;#ASMSTART
	v_dot2_f32_f16 v38, v40, v48, v38
	;;#ASMEND
	;;#ASMSTART
	v_dot2_f32_f16 v38, v41, v49, v38
	;;#ASMEND
	;;#ASMSTART
	v_dot2_f32_f16 v38, v42, v50, v38
	;;#ASMEND
	ds_read_b128 v[39:42], v21 offset:16
	ds_read_b128 v[43:46], v8 offset:144
	ds_read_b128 v[47:50], v8 offset:528
	s_waitcnt lgkmcnt(1)
	;;#ASMSTART
	v_dot2_f32_f16 v37, v39, v43, v37
	;;#ASMEND
	;;#ASMSTART
	v_dot2_f32_f16 v37, v40, v44, v37
	;;#ASMEND
	;;#ASMSTART
	v_dot2_f32_f16 v37, v41, v45, v37
	;;#ASMEND
	;;#ASMSTART
	v_dot2_f32_f16 v37, v42, v46, v37
	;;#ASMEND
	s_waitcnt lgkmcnt(0)
	;;#ASMSTART
	v_dot2_f32_f16 v38, v39, v47, v38
	;;#ASMEND
	;;#ASMSTART
	v_dot2_f32_f16 v38, v40, v48, v38
	;;#ASMEND
	;;#ASMSTART
	v_dot2_f32_f16 v38, v41, v49, v38
	;;#ASMEND
	;;#ASMSTART
	v_dot2_f32_f16 v38, v42, v50, v38
	;;#ASMEND
	ds_read_b128 v[39:42], v21 offset:32
	;; [unrolled: 29-line block ×7, first 2 shown]
	ds_read_b128 v[43:46], v8 offset:240
	ds_read_b128 v[47:50], v8 offset:624
	s_waitcnt lgkmcnt(1)
	;;#ASMSTART
	v_dot2_f32_f16 v37, v39, v43, v37
	;;#ASMEND
	;;#ASMSTART
	v_dot2_f32_f16 v37, v40, v44, v37
	;;#ASMEND
	;; [unrolled: 3-line block ×4, first 2 shown]
	s_waitcnt lgkmcnt(0)
	;;#ASMSTART
	v_dot2_f32_f16 v38, v39, v47, v38
	;;#ASMEND
	;;#ASMSTART
	v_dot2_f32_f16 v38, v40, v48, v38
	;;#ASMEND
	;; [unrolled: 3-line block ×4, first 2 shown]
	s_barrier
	buffer_gl0_inv
	global_load_dwordx4 v[39:42], v[51:52], off offset:256
	s_waitcnt vmcnt(0)
	ds_write_b128 v18, v[39:42]
	s_waitcnt lgkmcnt(0)
	s_barrier
	buffer_gl0_inv
	ds_read_b128 v[39:42], v21
	ds_read_b128 v[43:46], v8 offset:256
	ds_read_b128 v[47:50], v8 offset:640
	s_waitcnt lgkmcnt(1)
	;;#ASMSTART
	v_dot2_f32_f16 v37, v39, v43, v37
	;;#ASMEND
	;;#ASMSTART
	v_dot2_f32_f16 v37, v40, v44, v37
	;;#ASMEND
	;;#ASMSTART
	v_dot2_f32_f16 v37, v41, v45, v37
	;;#ASMEND
	;;#ASMSTART
	v_dot2_f32_f16 v37, v42, v46, v37
	;;#ASMEND
	s_waitcnt lgkmcnt(0)
	;;#ASMSTART
	v_dot2_f32_f16 v38, v39, v47, v38
	;;#ASMEND
	;;#ASMSTART
	v_dot2_f32_f16 v38, v40, v48, v38
	;;#ASMEND
	;;#ASMSTART
	v_dot2_f32_f16 v38, v41, v49, v38
	;;#ASMEND
	;;#ASMSTART
	v_dot2_f32_f16 v38, v42, v50, v38
	;;#ASMEND
	ds_read_b128 v[39:42], v21 offset:16
	ds_read_b128 v[43:46], v8 offset:272
	ds_read_b128 v[47:50], v8 offset:656
	s_waitcnt lgkmcnt(1)
	;;#ASMSTART
	v_dot2_f32_f16 v37, v39, v43, v37
	;;#ASMEND
	;;#ASMSTART
	v_dot2_f32_f16 v37, v40, v44, v37
	;;#ASMEND
	;;#ASMSTART
	v_dot2_f32_f16 v37, v41, v45, v37
	;;#ASMEND
	;;#ASMSTART
	v_dot2_f32_f16 v37, v42, v46, v37
	;;#ASMEND
	s_waitcnt lgkmcnt(0)
	;;#ASMSTART
	v_dot2_f32_f16 v38, v39, v47, v38
	;;#ASMEND
	;;#ASMSTART
	v_dot2_f32_f16 v38, v40, v48, v38
	;;#ASMEND
	;;#ASMSTART
	v_dot2_f32_f16 v38, v41, v49, v38
	;;#ASMEND
	;;#ASMSTART
	v_dot2_f32_f16 v38, v42, v50, v38
	;;#ASMEND
	ds_read_b128 v[39:42], v21 offset:32
	;; [unrolled: 29-line block ×7, first 2 shown]
	ds_read_b128 v[43:46], v8 offset:368
	ds_read_b128 v[47:50], v8 offset:752
	s_waitcnt lgkmcnt(1)
	;;#ASMSTART
	v_dot2_f32_f16 v37, v39, v43, v37
	;;#ASMEND
	;;#ASMSTART
	v_dot2_f32_f16 v37, v40, v44, v37
	;;#ASMEND
	;; [unrolled: 3-line block ×4, first 2 shown]
	s_waitcnt lgkmcnt(0)
	;;#ASMSTART
	v_dot2_f32_f16 v38, v39, v47, v38
	;;#ASMEND
	;;#ASMSTART
	v_dot2_f32_f16 v38, v40, v48, v38
	;;#ASMEND
	;; [unrolled: 3-line block ×4, first 2 shown]
	global_load_ushort v4, v[4:5], off
	s_waitcnt vmcnt(0)
	s_barrier
	buffer_gl0_inv
	global_load_dwordx4 v[39:42], v[6:7], off
	v_cvt_f32_f16_e32 v4, v4
	v_add_f32_e32 v6, v37, v4
	v_add_f32_e32 v7, v38, v4
	;; [unrolled: 1-line block ×4, first 2 shown]
	v_max_f32_e32 v4, v53, v4
	v_max_f32_e32 v5, v54, v5
	ds_bpermute_b32 v37, v55, v4
	ds_bpermute_b32 v38, v55, v5
	s_waitcnt lgkmcnt(1)
	v_max_f32_e32 v37, v37, v37
	s_waitcnt lgkmcnt(0)
	v_max_f32_e32 v38, v38, v38
	v_max_f32_e32 v4, v4, v37
	v_max_f32_e32 v5, v5, v38
	ds_bpermute_b32 v37, v56, v4
	ds_bpermute_b32 v38, v56, v5
	s_waitcnt lgkmcnt(1)
	v_max_f32_e32 v37, v37, v37
	s_waitcnt lgkmcnt(0)
	v_max_f32_e32 v38, v38, v38
	;; [unrolled: 8-line block ×5, first 2 shown]
	v_max_f32_e32 v4, v4, v37
	v_max_f32_e32 v5, v5, v38
	v_sub_f32_e32 v6, v6, v4
	v_sub_f32_e32 v7, v7, v5
	;; [unrolled: 1-line block ×4, first 2 shown]
	v_mul_f32_e32 v37, 0x3fb8aa3b, v6
	v_mul_f32_e32 v38, 0x3fb8aa3b, v7
	v_cmp_ngt_f32_e32 vcc_lo, 0xc2ce8ed0, v7
	v_cmp_ngt_f32_e64 s0, 0xc2ce8ed0, v6
	v_fma_f32 v43, 0x3fb8aa3b, v6, -v37
	v_rndne_f32_e32 v44, v37
	v_fma_f32 v45, 0x3fb8aa3b, v7, -v38
	v_rndne_f32_e32 v46, v38
	v_fmac_f32_e32 v43, 0x32a5705f, v6
	v_sub_f32_e32 v37, v37, v44
	v_fmac_f32_e32 v45, 0x32a5705f, v7
	v_sub_f32_e32 v38, v38, v46
	v_cvt_i32_f32_e32 v44, v44
	v_cvt_i32_f32_e32 v46, v46
	v_add_f32_e32 v37, v37, v43
	v_add_f32_e32 v38, v38, v45
	v_exp_f32_e32 v37, v37
	v_exp_f32_e32 v38, v38
	v_ldexp_f32 v37, v37, v44
	v_ldexp_f32 v38, v38, v46
	v_cndmask_b32_e64 v37, 0, v37, s0
	v_cmp_nlt_f32_e64 s0, 0x42b17218, v6
	v_cndmask_b32_e32 v38, 0, v38, vcc_lo
	v_cmp_nlt_f32_e32 vcc_lo, 0x42b17218, v7
	v_cndmask_b32_e64 v6, 0x7f800000, v37, s0
	v_cmp_ngt_f32_e64 s0, 0xc2ce8ed0, v35
	v_cndmask_b32_e32 v7, 0x7f800000, v38, vcc_lo
	v_cmp_ngt_f32_e32 vcc_lo, 0xc2ce8ed0, v36
	v_cvt_f16_f32_e32 v37, v6
	v_cvt_f16_f32_e32 v38, v7
	v_pack_b32_f16 v37, v37, v38
	ds_write_b32 v26, v37
	s_waitcnt vmcnt(0)
	ds_write_b128 v23, v[39:42]
	s_waitcnt lgkmcnt(0)
	s_barrier
	buffer_gl0_inv
	ds_read_b128 v[37:40], v22
	ds_read_b128 v[41:44], v22 offset:16
	ds_read_b128 v[45:48], v22 offset:32
	;; [unrolled: 1-line block ×3, first 2 shown]
	s_waitcnt lgkmcnt(3)
	v_mul_u32_u24_sdwa v53, v37, v27 dst_sel:DWORD dst_unused:UNUSED_PAD src0_sel:WORD_0 src1_sel:DWORD
	v_mul_u32_u24_sdwa v54, v37, v27 dst_sel:DWORD dst_unused:UNUSED_PAD src0_sel:WORD_1 src1_sel:DWORD
	v_mul_f32_e32 v37, 0x3fb8aa3b, v36
	s_waitcnt lgkmcnt(2)
	v_mul_u32_u24_sdwa v61, v44, v27 dst_sel:DWORD dst_unused:UNUSED_PAD src0_sel:WORD_0 src1_sel:DWORD
	v_mul_u32_u24_sdwa v62, v44, v27 dst_sel:DWORD dst_unused:UNUSED_PAD src0_sel:WORD_1 src1_sel:DWORD
	s_waitcnt lgkmcnt(1)
	v_mul_u32_u24_sdwa v63, v45, v27 dst_sel:DWORD dst_unused:UNUSED_PAD src0_sel:WORD_0 src1_sel:DWORD
	v_mul_u32_u24_sdwa v64, v45, v27 dst_sel:DWORD dst_unused:UNUSED_PAD src0_sel:WORD_1 src1_sel:DWORD
	v_fma_f32 v44, 0x3fb8aa3b, v36, -v37
	v_rndne_f32_e32 v45, v37
	v_mul_u32_u24_sdwa v65, v46, v27 dst_sel:DWORD dst_unused:UNUSED_PAD src0_sel:WORD_0 src1_sel:DWORD
	v_mul_u32_u24_sdwa v66, v46, v27 dst_sel:DWORD dst_unused:UNUSED_PAD src0_sel:WORD_1 src1_sel:DWORD
	v_mul_u32_u24_sdwa v67, v47, v27 dst_sel:DWORD dst_unused:UNUSED_PAD src0_sel:WORD_0 src1_sel:DWORD
	v_fmac_f32_e32 v44, 0x32a5705f, v36
	v_sub_f32_e32 v37, v37, v45
	v_mul_u32_u24_sdwa v68, v47, v27 dst_sel:DWORD dst_unused:UNUSED_PAD src0_sel:WORD_1 src1_sel:DWORD
	v_cvt_i32_f32_e32 v45, v45
	v_mul_u32_u24_sdwa v55, v38, v27 dst_sel:DWORD dst_unused:UNUSED_PAD src0_sel:WORD_0 src1_sel:DWORD
	v_mul_u32_u24_sdwa v38, v38, v27 dst_sel:DWORD dst_unused:UNUSED_PAD src0_sel:WORD_1 src1_sel:DWORD
	v_add_f32_e32 v37, v37, v44
	v_mul_f32_e32 v44, 0x3fb8aa3b, v35
	v_mul_u32_u24_sdwa v56, v39, v27 dst_sel:DWORD dst_unused:UNUSED_PAD src0_sel:WORD_0 src1_sel:DWORD
	v_mul_u32_u24_sdwa v39, v39, v27 dst_sel:DWORD dst_unused:UNUSED_PAD src0_sel:WORD_1 src1_sel:DWORD
	v_mul_u32_u24_sdwa v57, v40, v27 dst_sel:DWORD dst_unused:UNUSED_PAD src0_sel:WORD_0 src1_sel:DWORD
	v_exp_f32_e32 v37, v37
	v_fma_f32 v46, 0x3fb8aa3b, v35, -v44
	v_rndne_f32_e32 v47, v44
	v_mul_u32_u24_sdwa v40, v40, v27 dst_sel:DWORD dst_unused:UNUSED_PAD src0_sel:WORD_1 src1_sel:DWORD
	v_mul_u32_u24_sdwa v58, v41, v27 dst_sel:DWORD dst_unused:UNUSED_PAD src0_sel:WORD_0 src1_sel:DWORD
	v_mul_u32_u24_sdwa v41, v41, v27 dst_sel:DWORD dst_unused:UNUSED_PAD src0_sel:WORD_1 src1_sel:DWORD
	v_fmac_f32_e32 v46, 0x32a5705f, v35
	v_sub_f32_e32 v44, v44, v47
	v_mul_u32_u24_sdwa v59, v42, v27 dst_sel:DWORD dst_unused:UNUSED_PAD src0_sel:WORD_0 src1_sel:DWORD
	v_mul_u32_u24_sdwa v42, v42, v27 dst_sel:DWORD dst_unused:UNUSED_PAD src0_sel:WORD_1 src1_sel:DWORD
	v_ldexp_f32 v37, v37, v45
	v_cvt_i32_f32_e32 v45, v47
	v_add_f32_e32 v44, v44, v46
	v_mul_u32_u24_sdwa v60, v43, v27 dst_sel:DWORD dst_unused:UNUSED_PAD src0_sel:WORD_0 src1_sel:DWORD
	v_mul_u32_u24_sdwa v43, v43, v27 dst_sel:DWORD dst_unused:UNUSED_PAD src0_sel:WORD_1 src1_sel:DWORD
	v_cndmask_b32_e32 v37, 0, v37, vcc_lo
	v_cmp_nlt_f32_e32 vcc_lo, 0x42b17218, v36
	v_exp_f32_e32 v44, v44
	v_mul_u32_u24_sdwa v69, v48, v27 dst_sel:DWORD dst_unused:UNUSED_PAD src0_sel:WORD_0 src1_sel:DWORD
	v_mul_u32_u24_sdwa v48, v48, v27 dst_sel:DWORD dst_unused:UNUSED_PAD src0_sel:WORD_1 src1_sel:DWORD
	v_ldexp_f32 v44, v44, v45
	v_cndmask_b32_e64 v36, 0, v44, s0
	v_cmp_nlt_f32_e64 s0, 0x42b17218, v35
	v_cndmask_b32_e32 v44, 0x7f800000, v37, vcc_lo
	v_cndmask_b32_e64 v35, 0x7f800000, v36, s0
	s_or_b32 s0, s14, 16
	s_mul_hi_i32 s1, s0, s15
	s_mul_i32 s0, s0, s15
	v_fmac_f32_e32 v6, v34, v35
	v_mov_b32_e32 v34, v1
	v_cvt_f16_f32_e32 v35, v35
	v_mov_b32_e32 v1, v7
	s_lshl_b64 s[0:1], s[0:1], 2
	v_add_co_u32 v46, vcc_lo, v24, s0
	v_mul_u32_u24_sdwa v7, v35, v27 dst_sel:DWORD dst_unused:UNUSED_PAD src0_sel:WORD_0 src1_sel:DWORD
	v_fmac_f32_e32 v1, v34, v44
	ds_read2_b64 v[34:37], v28 offset1:32
	v_add_co_ci_u32_e64 v47, null, s1, v25, vcc_lo
	s_waitcnt lgkmcnt(0)
	v_pk_mul_f16 v45, v34, v53
	v_pk_mul_f16 v34, v34, v54
	v_pk_fma_f16 v32, v32, v7, v45
	v_pk_mul_f16 v7, v33, v7
	v_cvt_f16_f32_e32 v33, v44
	v_pk_fma_f16 v7, v35, v53, v7
	v_mul_u32_u24_sdwa v33, v33, v27 dst_sel:DWORD dst_unused:UNUSED_PAD src0_sel:WORD_0 src1_sel:DWORD
	v_pk_fma_f16 v7, v37, v55, v7
	v_pk_mul_f16 v30, v30, v33
	v_pk_fma_f16 v31, v31, v33, v34
	v_pk_fma_f16 v34, v36, v55, v32
	;; [unrolled: 1-line block ×5, first 2 shown]
	ds_read2_b64 v[30:33], v28 offset0:64 offset1:96
	s_waitcnt lgkmcnt(0)
	v_pk_fma_f16 v34, v30, v56, v34
	v_pk_fma_f16 v7, v31, v56, v7
	;; [unrolled: 1-line block ×5, first 2 shown]
	ds_read2_b64 v[34:37], v28 offset0:128 offset1:160
	v_pk_fma_f16 v7, v33, v57, v7
	v_pk_fma_f16 v39, v33, v40, v31
	;; [unrolled: 1-line block ×3, first 2 shown]
	ds_read2_b64 v[30:33], v28 offset0:192 offset1:224
	s_waitcnt lgkmcnt(1)
	v_pk_fma_f16 v38, v34, v58, v38
	v_pk_fma_f16 v7, v35, v58, v7
	;; [unrolled: 1-line block ×5, first 2 shown]
	ds_read2_b64 v[38:41], v29 offset1:32
	v_pk_fma_f16 v7, v37, v59, v7
	v_pk_fma_f16 v45, v37, v42, v35
	;; [unrolled: 1-line block ×3, first 2 shown]
	s_waitcnt lgkmcnt(1)
	v_pk_fma_f16 v44, v30, v60, v44
	ds_read2_b64 v[34:37], v29 offset0:64 offset1:96
	v_pk_fma_f16 v7, v31, v60, v7
	v_pk_fma_f16 v31, v31, v43, v45
	;; [unrolled: 1-line block ×4, first 2 shown]
	ds_read2_b64 v[42:45], v29 offset0:128 offset1:160
	v_pk_fma_f16 v7, v33, v61, v7
	v_pk_fma_f16 v57, v33, v62, v31
	;; [unrolled: 1-line block ×3, first 2 shown]
	ds_read2_b64 v[30:33], v29 offset0:192 offset1:224
	s_waitcnt lgkmcnt(0)
	s_barrier
	buffer_gl0_inv
	v_pk_fma_f16 v59, v38, v63, v53
	global_load_dwordx4 v[53:56], v[46:47], off
	v_pk_fma_f16 v7, v39, v63, v7
	v_pk_fma_f16 v39, v39, v64, v57
	;; [unrolled: 1-line block ×4, first 2 shown]
	v_mul_u32_u24_sdwa v46, v49, v27 dst_sel:DWORD dst_unused:UNUSED_PAD src0_sel:WORD_0 src1_sel:DWORD
	v_pk_fma_f16 v7, v41, v65, v7
	v_pk_fma_f16 v39, v41, v66, v39
	;; [unrolled: 1-line block ×3, first 2 shown]
	v_mul_u32_u24_sdwa v49, v49, v27 dst_sel:DWORD dst_unused:UNUSED_PAD src0_sel:WORD_1 src1_sel:DWORD
	v_mul_u32_u24_sdwa v40, v50, v27 dst_sel:DWORD dst_unused:UNUSED_PAD src0_sel:WORD_0 src1_sel:DWORD
	v_pk_fma_f16 v7, v35, v67, v7
	v_pk_fma_f16 v35, v35, v68, v39
	;; [unrolled: 1-line block ×4, first 2 shown]
	v_mul_u32_u24_sdwa v41, v50, v27 dst_sel:DWORD dst_unused:UNUSED_PAD src0_sel:WORD_1 src1_sel:DWORD
	v_pk_fma_f16 v7, v37, v69, v7
	v_pk_fma_f16 v35, v37, v48, v35
	;; [unrolled: 1-line block ×4, first 2 shown]
	v_mul_u32_u24_sdwa v50, v51, v27 dst_sel:DWORD dst_unused:UNUSED_PAD src0_sel:WORD_0 src1_sel:DWORD
	v_pk_fma_f16 v7, v43, v46, v7
	v_pk_fma_f16 v35, v43, v49, v35
	;; [unrolled: 1-line block ×4, first 2 shown]
	v_mul_u32_u24_sdwa v51, v51, v27 dst_sel:DWORD dst_unused:UNUSED_PAD src0_sel:WORD_1 src1_sel:DWORD
	v_pk_fma_f16 v7, v45, v40, v7
	v_pk_fma_f16 v35, v45, v41, v35
	v_pk_fma_f16 v36, v44, v40, v36
	v_pk_fma_f16 v34, v44, v41, v34
	v_mul_u32_u24_sdwa v57, v52, v27 dst_sel:DWORD dst_unused:UNUSED_PAD src0_sel:WORD_0 src1_sel:DWORD
	v_mul_u32_u24_sdwa v52, v52, v27 dst_sel:DWORD dst_unused:UNUSED_PAD src0_sel:WORD_1 src1_sel:DWORD
	v_pk_fma_f16 v7, v31, v50, v7
	v_pk_fma_f16 v31, v31, v51, v35
	v_pk_fma_f16 v35, v30, v50, v36
	v_pk_fma_f16 v30, v30, v51, v34
	v_pk_fma_f16 v7, v33, v57, v7
	v_pk_fma_f16 v58, v33, v52, v31
	v_pk_fma_f16 v59, v32, v57, v35
	v_pk_fma_f16 v60, v32, v52, v30
	s_waitcnt vmcnt(0)
	ds_write_b128 v23, v[53:56]
	s_waitcnt lgkmcnt(0)
	s_barrier
	buffer_gl0_inv
	ds_read_b128 v[30:33], v22 offset:64
	ds_read2_b64 v[34:37], v28 offset1:32
	ds_read_b128 v[38:41], v22 offset:80
	ds_read2_b64 v[42:45], v28 offset0:64 offset1:96
	ds_read2_b64 v[46:49], v28 offset0:128 offset1:160
	ds_read_b128 v[50:53], v22 offset:96
	ds_read_b128 v[54:57], v22 offset:112
	s_waitcnt lgkmcnt(6)
	v_mul_u32_u24_sdwa v61, v30, v27 dst_sel:DWORD dst_unused:UNUSED_PAD src0_sel:WORD_0 src1_sel:DWORD
	v_mul_u32_u24_sdwa v30, v30, v27 dst_sel:DWORD dst_unused:UNUSED_PAD src0_sel:WORD_1 src1_sel:DWORD
	v_mul_u32_u24_sdwa v62, v31, v27 dst_sel:DWORD dst_unused:UNUSED_PAD src0_sel:WORD_0 src1_sel:DWORD
	v_mul_u32_u24_sdwa v31, v31, v27 dst_sel:DWORD dst_unused:UNUSED_PAD src0_sel:WORD_1 src1_sel:DWORD
	v_mul_u32_u24_sdwa v63, v33, v27 dst_sel:DWORD dst_unused:UNUSED_PAD src0_sel:WORD_1 src1_sel:DWORD
	s_waitcnt lgkmcnt(5)
	v_pk_fma_f16 v59, v34, v61, v59
	v_pk_fma_f16 v7, v35, v61, v7
	v_pk_fma_f16 v34, v34, v30, v60
	v_pk_fma_f16 v30, v35, v30, v58
	v_mul_u32_u24_sdwa v61, v32, v27 dst_sel:DWORD dst_unused:UNUSED_PAD src0_sel:WORD_1 src1_sel:DWORD
	v_pk_fma_f16 v58, v36, v62, v59
	v_pk_fma_f16 v7, v37, v62, v7
	;; [unrolled: 1-line block ×4, first 2 shown]
	v_mul_u32_u24_sdwa v30, v32, v27 dst_sel:DWORD dst_unused:UNUSED_PAD src0_sel:WORD_0 src1_sel:DWORD
	ds_read2_b64 v[34:37], v28 offset0:192 offset1:224
	v_mul_u32_u24_sdwa v62, v33, v27 dst_sel:DWORD dst_unused:UNUSED_PAD src0_sel:WORD_0 src1_sel:DWORD
	s_waitcnt lgkmcnt(4)
	v_pk_fma_f16 v58, v42, v30, v58
	v_pk_fma_f16 v7, v43, v30, v7
	;; [unrolled: 1-line block ×4, first 2 shown]
	v_mul_u32_u24_sdwa v61, v38, v27 dst_sel:DWORD dst_unused:UNUSED_PAD src0_sel:WORD_0 src1_sel:DWORD
	v_pk_fma_f16 v58, v44, v62, v58
	v_pk_fma_f16 v7, v45, v62, v7
	;; [unrolled: 1-line block ×4, first 2 shown]
	v_mul_u32_u24_sdwa v38, v38, v27 dst_sel:DWORD dst_unused:UNUSED_PAD src0_sel:WORD_1 src1_sel:DWORD
	ds_read2_b64 v[30:33], v29 offset1:32
	v_mul_u32_u24_sdwa v62, v39, v27 dst_sel:DWORD dst_unused:UNUSED_PAD src0_sel:WORD_0 src1_sel:DWORD
	s_waitcnt lgkmcnt(4)
	v_pk_fma_f16 v58, v46, v61, v58
	v_pk_fma_f16 v7, v47, v61, v7
	v_mul_u32_u24_sdwa v39, v39, v27 dst_sel:DWORD dst_unused:UNUSED_PAD src0_sel:WORD_1 src1_sel:DWORD
	v_pk_fma_f16 v46, v46, v38, v59
	v_pk_fma_f16 v38, v47, v38, v60
	;; [unrolled: 1-line block ×4, first 2 shown]
	v_mul_u32_u24_sdwa v61, v40, v27 dst_sel:DWORD dst_unused:UNUSED_PAD src0_sel:WORD_1 src1_sel:DWORD
	v_pk_fma_f16 v59, v48, v39, v46
	v_pk_fma_f16 v60, v49, v39, v38
	v_mul_u32_u24_sdwa v38, v40, v27 dst_sel:DWORD dst_unused:UNUSED_PAD src0_sel:WORD_0 src1_sel:DWORD
	ds_read2_b64 v[42:45], v29 offset0:64 offset1:96
	v_mul_u32_u24_sdwa v62, v41, v27 dst_sel:DWORD dst_unused:UNUSED_PAD src0_sel:WORD_0 src1_sel:DWORD
	v_mul_u32_u24_sdwa v63, v41, v27 dst_sel:DWORD dst_unused:UNUSED_PAD src0_sel:WORD_1 src1_sel:DWORD
	ds_read2_b64 v[46:49], v29 offset0:128 offset1:160
	s_waitcnt lgkmcnt(3)
	v_pk_fma_f16 v58, v34, v38, v58
	v_pk_fma_f16 v7, v35, v38, v7
	;; [unrolled: 1-line block ×4, first 2 shown]
	v_mul_u32_u24_sdwa v59, v50, v27 dst_sel:DWORD dst_unused:UNUSED_PAD src0_sel:WORD_0 src1_sel:DWORD
	v_pk_fma_f16 v58, v36, v62, v58
	v_pk_fma_f16 v7, v37, v62, v7
	v_mul_u32_u24_sdwa v50, v50, v27 dst_sel:DWORD dst_unused:UNUSED_PAD src0_sel:WORD_1 src1_sel:DWORD
	v_pk_fma_f16 v34, v36, v63, v34
	v_pk_fma_f16 v35, v37, v63, v35
	v_mul_u32_u24_sdwa v36, v51, v27 dst_sel:DWORD dst_unused:UNUSED_PAD src0_sel:WORD_0 src1_sel:DWORD
	v_mul_u32_u24_sdwa v37, v51, v27 dst_sel:DWORD dst_unused:UNUSED_PAD src0_sel:WORD_1 src1_sel:DWORD
	s_waitcnt lgkmcnt(2)
	v_pk_fma_f16 v58, v30, v59, v58
	v_pk_fma_f16 v30, v30, v50, v34
	;; [unrolled: 1-line block ×4, first 2 shown]
	v_mul_u32_u24_sdwa v51, v52, v27 dst_sel:DWORD dst_unused:UNUSED_PAD src0_sel:WORD_0 src1_sel:DWORD
	v_mul_u32_u24_sdwa v52, v52, v27 dst_sel:DWORD dst_unused:UNUSED_PAD src0_sel:WORD_1 src1_sel:DWORD
	v_pk_fma_f16 v35, v32, v36, v58
	v_pk_fma_f16 v30, v32, v37, v30
	;; [unrolled: 1-line block ×4, first 2 shown]
	ds_read2_b64 v[38:41], v29 offset0:192 offset1:224
	v_mul_u32_u24_sdwa v60, v53, v27 dst_sel:DWORD dst_unused:UNUSED_PAD src0_sel:WORD_0 src1_sel:DWORD
	v_mul_u32_u24_sdwa v53, v53, v27 dst_sel:DWORD dst_unused:UNUSED_PAD src0_sel:WORD_1 src1_sel:DWORD
	s_waitcnt lgkmcnt(2)
	v_pk_fma_f16 v33, v42, v51, v35
	v_pk_fma_f16 v30, v42, v52, v30
	v_pk_fma_f16 v7, v43, v51, v7
	v_pk_fma_f16 v31, v43, v52, v31
	s_waitcnt lgkmcnt(0)
	s_barrier
	buffer_gl0_inv
	s_load_dword s0, s[6:7], 0x4
	v_mul_u32_u24_sdwa v61, v54, v27 dst_sel:DWORD dst_unused:UNUSED_PAD src0_sel:WORD_0 src1_sel:DWORD
	v_mul_u32_u24_sdwa v54, v54, v27 dst_sel:DWORD dst_unused:UNUSED_PAD src0_sel:WORD_1 src1_sel:DWORD
	v_pk_fma_f16 v33, v44, v60, v33
	v_pk_fma_f16 v30, v44, v53, v30
	v_pk_fma_f16 v7, v45, v60, v7
	v_pk_fma_f16 v31, v45, v53, v31
	v_mul_u32_u24_sdwa v62, v55, v27 dst_sel:DWORD dst_unused:UNUSED_PAD src0_sel:WORD_0 src1_sel:DWORD
	v_mul_u32_u24_sdwa v34, v55, v27 dst_sel:DWORD dst_unused:UNUSED_PAD src0_sel:WORD_1 src1_sel:DWORD
	v_pk_fma_f16 v33, v46, v61, v33
	v_pk_fma_f16 v30, v46, v54, v30
	v_pk_fma_f16 v7, v47, v61, v7
	v_pk_fma_f16 v31, v47, v54, v31
	;; [unrolled: 6-line block ×4, first 2 shown]
	s_waitcnt lgkmcnt(0)
	s_lshl_b32 s0, s0, 5
	v_pk_fma_f16 v32, v40, v36, v33
	v_pk_fma_f16 v31, v40, v37, v30
	;; [unrolled: 1-line block ×4, first 2 shown]
	s_add_i32 s14, s0, s14
	s_cmp_ge_i32 s14, s30
	s_cbranch_scc0 .LBB13_13
; %bb.14:
	v_mov_b32_e32 v3, v9
.LBB13_15:
	v_cmp_lt_i32_e32 vcc_lo, v17, v12
	s_cmp_lg_u64 s[16:17], 0
	s_cselect_b32 s0, -1, 0
	s_cmp_eq_u32 s28, 0
	v_cndmask_b32_e32 v7, v3, v17, vcc_lo
	v_cmp_lt_i32_e32 vcc_lo, v16, v12
	s_cselect_b32 s1, -1, 0
	s_and_b32 s0, s1, s0
	v_lshlrev_b32_e32 v7, 2, v7
	v_cndmask_b32_e32 v9, v3, v16, vcc_lo
	v_cmp_lt_i32_e32 vcc_lo, v15, v12
	ds_bpermute_b32 v8, v7, v6
	ds_bpermute_b32 v7, v7, v1
	v_lshlrev_b32_e32 v9, 2, v9
	s_waitcnt lgkmcnt(1)
	v_add_f32_e32 v6, v6, v8
	s_waitcnt lgkmcnt(0)
	v_add_f32_e32 v1, v1, v7
	ds_bpermute_b32 v7, v9, v6
	ds_bpermute_b32 v8, v9, v1
	v_cndmask_b32_e32 v9, v3, v15, vcc_lo
	v_cmp_lt_i32_e32 vcc_lo, v14, v12
	v_lshlrev_b32_e32 v9, 2, v9
	s_waitcnt lgkmcnt(1)
	v_add_f32_e32 v6, v6, v7
	s_waitcnt lgkmcnt(0)
	v_add_f32_e32 v1, v1, v8
	ds_bpermute_b32 v7, v9, v6
	ds_bpermute_b32 v8, v9, v1
	v_cndmask_b32_e32 v9, v3, v14, vcc_lo
	v_cmp_lt_i32_e32 vcc_lo, v13, v12
	v_lshlrev_b32_e32 v9, 2, v9
	v_cndmask_b32_e32 v3, v3, v13, vcc_lo
	s_and_b32 vcc_lo, exec_lo, s0
	v_lshlrev_b32_e32 v3, 2, v3
	s_waitcnt lgkmcnt(1)
	v_add_f32_e32 v6, v6, v7
	s_waitcnt lgkmcnt(0)
	v_add_f32_e32 v1, v1, v8
	ds_bpermute_b32 v7, v9, v6
	ds_bpermute_b32 v8, v9, v1
	s_waitcnt lgkmcnt(1)
	v_add_f32_e32 v6, v6, v7
	s_waitcnt lgkmcnt(0)
	v_add_f32_e32 v1, v1, v8
	ds_bpermute_b32 v7, v3, v6
	ds_bpermute_b32 v3, v3, v1
	s_waitcnt lgkmcnt(1)
	v_add_f32_e32 v6, v6, v7
	s_waitcnt lgkmcnt(0)
	v_add_f32_e32 v7, v1, v3
	s_cbranch_vccz .LBB13_18
; %bb.16:
	v_add_nc_u32_e32 v8, s33, v10
	v_max_f32_e32 v1, v4, v4
	v_max_f32_e32 v13, v5, v5
	v_ashrrev_i32_e32 v9, 31, v8
	v_lshlrev_b64 v[8:9], 2, v[8:9]
	v_add_co_u32 v8, vcc_lo, s16, v8
	v_add_co_ci_u32_e64 v9, null, s17, v9, vcc_lo
	global_load_dwordx2 v[8:9], v[8:9], off
	s_waitcnt vmcnt(0)
	v_max_f32_e32 v3, v8, v8
	v_max_f32_e32 v14, v9, v9
	v_max_f32_e32 v12, v1, v3
	v_max_f32_e32 v13, v13, v14
	v_sub_f32_e32 v1, v4, v12
	v_sub_f32_e32 v3, v8, v12
	;; [unrolled: 1-line block ×4, first 2 shown]
	v_mul_f32_e32 v8, 0x3fb8aa3b, v1
	v_mul_f32_e32 v9, 0x3fb8aa3b, v3
	;; [unrolled: 1-line block ×4, first 2 shown]
	v_cmp_ngt_f32_e32 vcc_lo, 0xc2ce8ed0, v1
	v_fma_f32 v16, 0x3fb8aa3b, v1, -v8
	v_rndne_f32_e32 v17, v8
	v_fma_f32 v20, 0x3fb8aa3b, v4, -v14
	v_rndne_f32_e32 v21, v14
	v_fma_f32 v18, 0x3fb8aa3b, v3, -v9
	v_fmac_f32_e32 v16, 0x32a5705f, v1
	v_sub_f32_e32 v8, v8, v17
	v_rndne_f32_e32 v19, v9
	v_fmac_f32_e32 v20, 0x32a5705f, v4
	v_sub_f32_e32 v14, v14, v21
	v_fmac_f32_e32 v18, 0x32a5705f, v3
	v_add_f32_e32 v8, v8, v16
	v_sub_f32_e32 v9, v9, v19
	v_cvt_i32_f32_e32 v16, v17
	v_add_f32_e32 v14, v14, v20
	v_fma_f32 v22, 0x3fb8aa3b, v5, -v15
	v_exp_f32_e32 v8, v8
	v_add_f32_e32 v9, v9, v18
	v_rndne_f32_e32 v23, v15
	v_exp_f32_e32 v14, v14
	v_cvt_i32_f32_e32 v18, v21
	v_fmac_f32_e32 v22, 0x32a5705f, v5
	v_exp_f32_e32 v9, v9
	v_sub_f32_e32 v15, v15, v23
	v_cvt_i32_f32_e32 v17, v19
	v_cvt_i32_f32_e32 v19, v23
	v_ldexp_f32 v8, v8, v16
	v_mov_b32_e32 v20, 0x10001
	v_add_f32_e32 v15, v15, v22
	v_ldexp_f32 v14, v14, v18
	v_cndmask_b32_e32 v8, 0, v8, vcc_lo
	v_cmp_ngt_f32_e32 vcc_lo, 0xc2ce8ed0, v4
	v_ldexp_f32 v9, v9, v17
	v_exp_f32_e32 v15, v15
	v_cndmask_b32_e32 v14, 0, v14, vcc_lo
	v_cmp_ngt_f32_e32 vcc_lo, 0xc2ce8ed0, v3
	v_cndmask_b32_e32 v9, 0, v9, vcc_lo
	v_cmp_nlt_f32_e32 vcc_lo, 0x42b17218, v1
	v_ldexp_f32 v15, v15, v19
	v_cndmask_b32_e32 v1, 0x7f800000, v8, vcc_lo
	v_cmp_nlt_f32_e32 vcc_lo, 0x42b17218, v4
	v_cndmask_b32_e32 v14, 0x7f800000, v14, vcc_lo
	v_cmp_ngt_f32_e32 vcc_lo, 0xc2ce8ed0, v5
	v_cndmask_b32_e32 v4, 0, v15, vcc_lo
	v_cmp_nlt_f32_e32 vcc_lo, 0x42b17218, v3
	v_cvt_f16_f32_e32 v3, v1
	v_cvt_f16_f32_e32 v15, v14
	v_cndmask_b32_e32 v8, 0x7f800000, v9, vcc_lo
	v_cmp_nlt_f32_e32 vcc_lo, 0x42b17218, v5
	v_fmac_f32_e32 v8, v6, v1
	v_cndmask_b32_e32 v9, 0x7f800000, v4, vcc_lo
	v_mul_u32_u24_sdwa v1, v3, v20 dst_sel:DWORD dst_unused:UNUSED_PAD src0_sel:WORD_0 src1_sel:DWORD
	v_mul_u32_u24_sdwa v3, v15, v20 dst_sel:DWORD dst_unused:UNUSED_PAD src0_sel:WORD_0 src1_sel:DWORD
	v_mov_b32_e32 v4, v12
	v_mov_b32_e32 v5, v13
	v_fmac_f32_e32 v9, v7, v14
	v_mov_b32_e32 v6, v8
	v_pk_mul_f16 v32, v32, v1
	v_pk_mul_f16 v33, v33, v1
	;; [unrolled: 1-line block ×4, first 2 shown]
	v_mov_b32_e32 v7, v9
	s_mov_b32 s0, exec_lo
	v_cmpx_gt_i32_e64 s2, v2
	s_cbranch_execnz .LBB13_19
.LBB13_17:
	s_endpgm
.LBB13_18:
	v_mov_b32_e32 v9, v7
	v_mov_b32_e32 v8, v6
	s_mov_b32 s0, exec_lo
	v_cmpx_gt_i32_e64 s2, v2
	s_cbranch_execz .LBB13_17
.LBB13_19:
	s_load_dword s1, s[4:5], 0xd4
	v_mov_b32_e32 v3, 1.0
	s_waitcnt lgkmcnt(0)
	s_cmp_lg_u32 s1, 1
	s_cselect_b32 s5, -1, 0
	s_cmp_eq_u32 s1, 1
	s_cselect_b32 s4, -1, 0
	s_and_b32 vcc_lo, exec_lo, s5
	s_cbranch_vccnz .LBB13_21
; %bb.20:
	v_div_scale_f32 v1, null, v6, v6, 1.0
	v_rcp_f32_e32 v3, v1
	v_fma_f32 v12, -v1, v3, 1.0
	v_fmac_f32_e32 v3, v12, v3
	v_div_scale_f32 v12, vcc_lo, 1.0, v6, 1.0
	v_mul_f32_e32 v13, v12, v3
	v_fma_f32 v14, -v1, v13, v12
	v_fmac_f32_e32 v13, v14, v3
	v_fma_f32 v1, -v1, v13, v12
	v_div_fmas_f32 v1, v1, v3, v13
	v_div_fixup_f32 v3, v1, v6, 1.0
.LBB13_21:
	v_mad_u64_u32 v[1:2], null, s29, s2, v[2:3]
	v_mov_b32_e32 v13, 0
	v_cmp_eq_u32_e32 vcc_lo, 0, v0
	v_cvt_f32_f16_e32 v0, v32
	v_cvt_f32_f16_e32 v6, v33
	v_mul_lo_u32 v1, v1, s3
	v_mul_f32_e32 v14, v3, v6
	v_add3_u32 v1, s33, v10, v1
	v_cvt_f32_f16_sdwa v10, v33 dst_sel:DWORD dst_unused:UNUSED_PAD src0_sel:WORD_1
	v_mad_u64_u32 v[1:2], null, s1, v1, s[28:29]
	v_cvt_f32_f16_sdwa v2, v32 dst_sel:DWORD dst_unused:UNUSED_PAD src0_sel:WORD_1
	v_mul_f32_e32 v15, v3, v10
	v_lshl_add_u32 v12, v1, 7, v11
	v_lshlrev_b64 v[16:17], 2, v[12:13]
	v_mul_f32_e32 v13, v3, v2
	v_mul_f32_e32 v12, v3, v0
	v_add_co_u32 v2, s0, s20, v16
	v_add_co_ci_u32_e64 v3, null, s21, v17, s0
	s_and_b32 s0, vcc_lo, s5
	global_store_dwordx4 v[2:3], v[12:15], off
	s_and_saveexec_b32 s2, s0
	s_cbranch_execz .LBB13_23
; %bb.22:
	v_ashrrev_i32_e32 v2, 31, v1
	v_mov_b32_e32 v12, v4
	v_mov_b32_e32 v13, v8
	v_lshlrev_b64 v[2:3], 3, v[1:2]
	v_add_co_u32 v2, vcc_lo, s22, v2
	v_add_co_ci_u32_e64 v3, null, s23, v3, vcc_lo
	global_store_dwordx2 v[2:3], v[12:13], off
.LBB13_23:
	s_or_b32 exec_lo, exec_lo, s2
	v_mov_b32_e32 v2, 1.0
	s_andn2_b32 vcc_lo, exec_lo, s4
	s_cbranch_vccnz .LBB13_25
; %bb.24:
	v_div_scale_f32 v0, null, v7, v7, 1.0
	v_rcp_f32_e32 v2, v0
	v_fma_f32 v3, -v0, v2, 1.0
	v_fmac_f32_e32 v2, v3, v2
	v_div_scale_f32 v3, vcc_lo, 1.0, v7, 1.0
	v_mul_f32_e32 v4, v3, v2
	v_fma_f32 v6, -v0, v4, v3
	v_fmac_f32_e32 v4, v6, v2
	v_fma_f32 v0, -v0, v4, v3
	v_div_fmas_f32 v0, v0, v2, v4
	v_div_fixup_f32 v2, v0, v7, 1.0
.LBB13_25:
	v_add_nc_u32_e32 v0, s1, v1
	v_mov_b32_e32 v4, 0
	v_cvt_f32_f16_e32 v1, v31
	v_cvt_f32_f16_sdwa v6, v31 dst_sel:DWORD dst_unused:UNUSED_PAD src0_sel:WORD_1
	v_cvt_f32_f16_e32 v7, v30
	v_lshl_add_u32 v3, v0, 7, v11
	v_cvt_f32_f16_sdwa v8, v30 dst_sel:DWORD dst_unused:UNUSED_PAD src0_sel:WORD_1
	v_mul_f32_e32 v10, v2, v1
	v_mul_f32_e32 v11, v2, v6
	;; [unrolled: 1-line block ×3, first 2 shown]
	v_lshlrev_b64 v[3:4], 2, v[3:4]
	v_mul_f32_e32 v13, v2, v8
	v_add_co_u32 v1, vcc_lo, s20, v3
	v_add_co_ci_u32_e64 v2, null, s21, v4, vcc_lo
	global_store_dwordx4 v[1:2], v[10:13], off
	s_and_b32 exec_lo, exec_lo, s0
	s_cbranch_execz .LBB13_17
; %bb.26:
	v_ashrrev_i32_e32 v1, 31, v0
	v_mov_b32_e32 v8, v5
	v_lshlrev_b64 v[0:1], 3, v[0:1]
	v_add_co_u32 v0, vcc_lo, s22, v0
	v_add_co_ci_u32_e64 v1, null, s23, v1, vcc_lo
	global_store_dwordx2 v[0:1], v[8:9], off
	s_endpgm
	.section	.rodata,"a",@progbits
	.p2align	6, 0x0
	.amdhsa_kernel _ZL15flash_attn_tileILi192ELi128ELi2ELi8ELb0EEvPKcS1_S1_S1_S1_PKiPfP15HIP_vector_typeIfLj2EEffffjfiS5_IjLj3EEiiiiiiiiiiiliiliiiiil
		.amdhsa_group_segment_fixed_size 11776
		.amdhsa_private_segment_fixed_size 0
		.amdhsa_kernarg_size 464
		.amdhsa_user_sgpr_count 6
		.amdhsa_user_sgpr_private_segment_buffer 1
		.amdhsa_user_sgpr_dispatch_ptr 0
		.amdhsa_user_sgpr_queue_ptr 0
		.amdhsa_user_sgpr_kernarg_segment_ptr 1
		.amdhsa_user_sgpr_dispatch_id 0
		.amdhsa_user_sgpr_flat_scratch_init 0
		.amdhsa_user_sgpr_private_segment_size 0
		.amdhsa_wavefront_size32 1
		.amdhsa_uses_dynamic_stack 0
		.amdhsa_system_sgpr_private_segment_wavefront_offset 0
		.amdhsa_system_sgpr_workgroup_id_x 1
		.amdhsa_system_sgpr_workgroup_id_y 1
		.amdhsa_system_sgpr_workgroup_id_z 1
		.amdhsa_system_sgpr_workgroup_info 0
		.amdhsa_system_vgpr_workitem_id 1
		.amdhsa_next_free_vgpr 70
		.amdhsa_next_free_sgpr 40
		.amdhsa_reserve_vcc 1
		.amdhsa_reserve_flat_scratch 0
		.amdhsa_float_round_mode_32 0
		.amdhsa_float_round_mode_16_64 0
		.amdhsa_float_denorm_mode_32 3
		.amdhsa_float_denorm_mode_16_64 3
		.amdhsa_dx10_clamp 1
		.amdhsa_ieee_mode 1
		.amdhsa_fp16_overflow 0
		.amdhsa_workgroup_processor_mode 1
		.amdhsa_memory_ordered 1
		.amdhsa_forward_progress 1
		.amdhsa_shared_vgpr_count 0
		.amdhsa_exception_fp_ieee_invalid_op 0
		.amdhsa_exception_fp_denorm_src 0
		.amdhsa_exception_fp_ieee_div_zero 0
		.amdhsa_exception_fp_ieee_overflow 0
		.amdhsa_exception_fp_ieee_underflow 0
		.amdhsa_exception_fp_ieee_inexact 0
		.amdhsa_exception_int_div_zero 0
	.end_amdhsa_kernel
	.section	.text._ZL15flash_attn_tileILi192ELi128ELi2ELi8ELb0EEvPKcS1_S1_S1_S1_PKiPfP15HIP_vector_typeIfLj2EEffffjfiS5_IjLj3EEiiiiiiiiiiiliiliiiiil,"axG",@progbits,_ZL15flash_attn_tileILi192ELi128ELi2ELi8ELb0EEvPKcS1_S1_S1_S1_PKiPfP15HIP_vector_typeIfLj2EEffffjfiS5_IjLj3EEiiiiiiiiiiiliiliiiiil,comdat
.Lfunc_end13:
	.size	_ZL15flash_attn_tileILi192ELi128ELi2ELi8ELb0EEvPKcS1_S1_S1_S1_PKiPfP15HIP_vector_typeIfLj2EEffffjfiS5_IjLj3EEiiiiiiiiiiiliiliiiiil, .Lfunc_end13-_ZL15flash_attn_tileILi192ELi128ELi2ELi8ELb0EEvPKcS1_S1_S1_S1_PKiPfP15HIP_vector_typeIfLj2EEffffjfiS5_IjLj3EEiiiiiiiiiiiliiliiiiil
                                        ; -- End function
	.set _ZL15flash_attn_tileILi192ELi128ELi2ELi8ELb0EEvPKcS1_S1_S1_S1_PKiPfP15HIP_vector_typeIfLj2EEffffjfiS5_IjLj3EEiiiiiiiiiiiliiliiiiil.num_vgpr, 70
	.set _ZL15flash_attn_tileILi192ELi128ELi2ELi8ELb0EEvPKcS1_S1_S1_S1_PKiPfP15HIP_vector_typeIfLj2EEffffjfiS5_IjLj3EEiiiiiiiiiiiliiliiiiil.num_agpr, 0
	.set _ZL15flash_attn_tileILi192ELi128ELi2ELi8ELb0EEvPKcS1_S1_S1_S1_PKiPfP15HIP_vector_typeIfLj2EEffffjfiS5_IjLj3EEiiiiiiiiiiiliiliiiiil.numbered_sgpr, 40
	.set _ZL15flash_attn_tileILi192ELi128ELi2ELi8ELb0EEvPKcS1_S1_S1_S1_PKiPfP15HIP_vector_typeIfLj2EEffffjfiS5_IjLj3EEiiiiiiiiiiiliiliiiiil.num_named_barrier, 0
	.set _ZL15flash_attn_tileILi192ELi128ELi2ELi8ELb0EEvPKcS1_S1_S1_S1_PKiPfP15HIP_vector_typeIfLj2EEffffjfiS5_IjLj3EEiiiiiiiiiiiliiliiiiil.private_seg_size, 0
	.set _ZL15flash_attn_tileILi192ELi128ELi2ELi8ELb0EEvPKcS1_S1_S1_S1_PKiPfP15HIP_vector_typeIfLj2EEffffjfiS5_IjLj3EEiiiiiiiiiiiliiliiiiil.uses_vcc, 1
	.set _ZL15flash_attn_tileILi192ELi128ELi2ELi8ELb0EEvPKcS1_S1_S1_S1_PKiPfP15HIP_vector_typeIfLj2EEffffjfiS5_IjLj3EEiiiiiiiiiiiliiliiiiil.uses_flat_scratch, 0
	.set _ZL15flash_attn_tileILi192ELi128ELi2ELi8ELb0EEvPKcS1_S1_S1_S1_PKiPfP15HIP_vector_typeIfLj2EEffffjfiS5_IjLj3EEiiiiiiiiiiiliiliiiiil.has_dyn_sized_stack, 0
	.set _ZL15flash_attn_tileILi192ELi128ELi2ELi8ELb0EEvPKcS1_S1_S1_S1_PKiPfP15HIP_vector_typeIfLj2EEffffjfiS5_IjLj3EEiiiiiiiiiiiliiliiiiil.has_recursion, 0
	.set _ZL15flash_attn_tileILi192ELi128ELi2ELi8ELb0EEvPKcS1_S1_S1_S1_PKiPfP15HIP_vector_typeIfLj2EEffffjfiS5_IjLj3EEiiiiiiiiiiiliiliiiiil.has_indirect_call, 0
	.section	.AMDGPU.csdata,"",@progbits
; Kernel info:
; codeLenInByte = 10852
; TotalNumSgprs: 42
; NumVgprs: 70
; ScratchSize: 0
; MemoryBound: 0
; FloatMode: 240
; IeeeMode: 1
; LDSByteSize: 11776 bytes/workgroup (compile time only)
; SGPRBlocks: 0
; VGPRBlocks: 8
; NumSGPRsForWavesPerEU: 42
; NumVGPRsForWavesPerEU: 70
; Occupancy: 12
; WaveLimiterHint : 1
; COMPUTE_PGM_RSRC2:SCRATCH_EN: 0
; COMPUTE_PGM_RSRC2:USER_SGPR: 6
; COMPUTE_PGM_RSRC2:TRAP_HANDLER: 0
; COMPUTE_PGM_RSRC2:TGID_X_EN: 1
; COMPUTE_PGM_RSRC2:TGID_Y_EN: 1
; COMPUTE_PGM_RSRC2:TGID_Z_EN: 1
; COMPUTE_PGM_RSRC2:TIDIG_COMP_CNT: 1
	.section	.text._ZL33flash_attn_stream_k_fixup_uniformILi128ELi2ELi8EEvPfPK15HIP_vector_typeIfLj2EEiiiiiiS1_IjLj3EES5_S5_,"axG",@progbits,_ZL33flash_attn_stream_k_fixup_uniformILi128ELi2ELi8EEvPfPK15HIP_vector_typeIfLj2EEiiiiiiS1_IjLj3EES5_S5_,comdat
	.globl	_ZL33flash_attn_stream_k_fixup_uniformILi128ELi2ELi8EEvPfPK15HIP_vector_typeIfLj2EEiiiiiiS1_IjLj3EES5_S5_ ; -- Begin function _ZL33flash_attn_stream_k_fixup_uniformILi128ELi2ELi8EEvPfPK15HIP_vector_typeIfLj2EEiiiiiiS1_IjLj3EES5_S5_
	.p2align	8
	.type	_ZL33flash_attn_stream_k_fixup_uniformILi128ELi2ELi8EEvPfPK15HIP_vector_typeIfLj2EEiiiiiiS1_IjLj3EES5_S5_,@function
_ZL33flash_attn_stream_k_fixup_uniformILi128ELi2ELi8EEvPfPK15HIP_vector_typeIfLj2EEiiiiiiS1_IjLj3EES5_S5_: ; @_ZL33flash_attn_stream_k_fixup_uniformILi128ELi2ELi8EEvPfPK15HIP_vector_typeIfLj2EEiiiiiiS1_IjLj3EES5_S5_
; %bb.0:
	s_clause 0x2
	s_load_dwordx8 s[12:19], s[4:5], 0x1c
	s_load_dwordx4 s[20:23], s[4:5], 0x3c
	s_load_dwordx2 s[10:11], s[4:5], 0x10
	s_waitcnt lgkmcnt(0)
	s_mul_hi_u32 s0, s15, s6
	s_add_i32 s0, s6, s0
	s_lshr_b32 s0, s0, s16
	s_mul_i32 s1, s0, s17
	s_sub_i32 s2, s6, s1
	s_mul_hi_u32 s1, s2, s18
	s_add_i32 s1, s2, s1
	s_lshr_b32 s1, s1, s19
	s_mul_i32 s3, s1, s20
	s_sub_i32 s2, s2, s3
	s_mul_hi_u32 s3, s2, s21
	s_add_i32 s3, s2, s3
	s_lshr_b32 s3, s3, s22
	s_mul_i32 s9, s3, s23
	s_lshl_b32 s15, s3, 3
	s_sub_i32 s9, s2, s9
	s_lshl_b32 s2, s9, 1
	s_add_i32 s2, s2, s7
	s_cmp_lt_i32 s2, s10
	s_cselect_b32 s2, -1, 0
	s_add_i32 s3, s15, s8
	s_cmp_lt_i32 s3, s13
	s_cselect_b32 s3, -1, 0
	s_and_b32 s2, s2, s3
	s_andn2_b32 vcc_lo, exec_lo, s2
	s_cbranch_vccnz .LBB14_6
; %bb.1:
	s_mul_i32 s0, s0, s10
	s_mul_i32 s10, s1, s13
	s_add_i32 s0, s0, s7
	s_mul_i32 s0, s0, s11
	s_add_i32 s13, s0, s8
	s_load_dwordx4 s[0:3], s[4:5], 0x0
	s_add_i32 s4, s13, s10
	s_mul_i32 s5, s11, s9
	s_add_i32 s4, s4, s15
	s_lshl_b32 s5, s5, 8
	s_lshl_b32 s4, s4, 7
	s_lshl_b32 s10, s7, 3
	s_add_i32 s5, s5, s4
	s_mul_i32 s4, s14, s6
	v_or_b32_e32 v1, s5, v0
	s_add_i32 s11, s4, s14
	v_ashrrev_i32_e32 v2, 31, v1
	v_lshlrev_b64 v[1:2], 2, v[1:2]
	s_waitcnt lgkmcnt(0)
	v_add_co_u32 v1, vcc_lo, s0, v1
	v_add_co_ci_u32_e64 v2, null, s1, v2, vcc_lo
	s_add_i32 s0, s10, s8
	s_lshl_b32 s1, s11, 4
	s_add_i32 s0, s0, s1
	global_load_dword v5, v[1:2], off
	s_add_i32 s0, s0, -16
	s_ashr_i32 s1, s0, 31
	s_lshl_b64 s[0:1], s[0:1], 3
	s_add_u32 s0, s2, s0
	s_addc_u32 s1, s3, s1
	s_add_i32 s5, s11, -2
	s_load_dword s13, s[0:1], 0x4
	s_cmp_lt_i32 s5, s4
	s_cbranch_scc1 .LBB14_4
; %bb.2:
	s_lshl_b32 s16, s12, 6
	s_load_dword s15, s[0:1], 0x0
	s_ashr_i32 s17, s16, 31
	s_waitcnt lgkmcnt(0)
	v_mov_b32_e32 v6, s13
	s_lshl_b64 s[0:1], s[16:17], 2
	s_add_u32 s5, s2, s0
	s_addc_u32 s9, s3, s1
	s_add_i32 s6, s6, 1
	s_lshl_b32 s0, s7, 10
	s_lshl_b32 s1, s8, 7
	s_mul_i32 s6, s14, s6
	s_add_i32 s0, s1, s0
	s_lshl_b32 s1, s6, 11
	s_add_i32 s0, s0, s1
	s_lshl_b32 s1, s6, 4
	v_or_b32_e32 v0, s0, v0
	s_lshl_b32 s0, s12, 4
	s_add_i32 s1, s8, s1
	s_add_i32 s6, s11, -1
	s_add_i32 s0, s1, s0
	v_add_nc_u32_e32 v3, 0xfffff000, v0
	v_mov_b32_e32 v0, s15
	s_add_i32 s0, s0, s10
	s_sub_i32 s0, s0, 32
.LBB14_3:                               ; =>This Inner Loop Header: Depth=1
	v_ashrrev_i32_e32 v4, 31, v3
	s_ashr_i32 s1, s0, 31
	s_lshl_b64 s[10:11], s[0:1], 3
	s_add_u32 s10, s2, s10
	v_lshlrev_b64 v[7:8], 2, v[3:4]
	s_addc_u32 s11, s3, s11
	v_add_nc_u32_e32 v3, 0xfffff800, v3
	s_add_i32 s6, s6, -1
	s_add_i32 s0, s0, -16
	s_cmp_le_i32 s6, s4
	v_add_co_u32 v7, vcc_lo, s5, v7
	v_add_co_ci_u32_e64 v8, null, s9, v8, vcc_lo
	s_load_dwordx2 s[10:11], s[10:11], 0x0
	global_load_dword v4, v[7:8], off
	v_max_f32_e32 v7, v0, v0
	s_waitcnt lgkmcnt(0)
	v_max_f32_e64 v8, s10, s10
	v_max_f32_e32 v7, v7, v8
	v_sub_f32_e32 v8, s10, v7
	v_sub_f32_e32 v0, v0, v7
	v_mul_f32_e32 v9, 0x3fb8aa3b, v8
	v_mul_f32_e32 v12, 0x3fb8aa3b, v0
	v_cmp_ngt_f32_e32 vcc_lo, 0xc2ce8ed0, v8
	v_fma_f32 v10, 0x3fb8aa3b, v8, -v9
	v_rndne_f32_e32 v11, v9
	v_fma_f32 v13, 0x3fb8aa3b, v0, -v12
	v_rndne_f32_e32 v14, v12
	v_fmac_f32_e32 v10, 0x32a5705f, v8
	v_sub_f32_e32 v9, v9, v11
	v_fmac_f32_e32 v13, 0x32a5705f, v0
	v_cvt_i32_f32_e32 v11, v11
	v_add_f32_e32 v9, v9, v10
	v_sub_f32_e32 v10, v12, v14
	v_exp_f32_e32 v9, v9
	v_add_f32_e32 v10, v10, v13
	v_exp_f32_e32 v10, v10
	v_ldexp_f32 v9, v9, v11
	v_cvt_i32_f32_e32 v11, v14
	v_cndmask_b32_e32 v9, 0, v9, vcc_lo
	v_cmp_nlt_f32_e32 vcc_lo, 0x42b17218, v8
	v_ldexp_f32 v10, v10, v11
	v_mov_b32_e32 v11, v6
	v_cndmask_b32_e32 v9, 0x7f800000, v9, vcc_lo
	v_cmp_ngt_f32_e32 vcc_lo, 0xc2ce8ed0, v0
	v_cndmask_b32_e32 v10, 0, v10, vcc_lo
	v_cmp_le_f32_e32 vcc_lo, 0xc1a00000, v8
	v_cndmask_b32_e32 v8, 0, v9, vcc_lo
	v_cmp_nlt_f32_e32 vcc_lo, 0x42b17218, v0
	s_waitcnt vmcnt(1)
	v_mov_b32_e32 v9, v5
	v_cndmask_b32_e32 v5, 0x7f800000, v10, vcc_lo
	v_mul_f32_e32 v10, s11, v8
	v_cmp_le_f32_e32 vcc_lo, 0xc1a00000, v0
	v_mov_b32_e32 v0, v7
	v_mov_b32_e32 v6, v10
	v_cndmask_b32_e32 v12, 0, v5, vcc_lo
	v_fmac_f32_e32 v6, v11, v12
	s_waitcnt vmcnt(0)
	v_mul_f32_e32 v5, v4, v8
	v_fmac_f32_e32 v5, v9, v12
	s_cbranch_scc0 .LBB14_3
	s_branch .LBB14_5
.LBB14_4:
	s_waitcnt lgkmcnt(0)
	v_mov_b32_e32 v6, s13
.LBB14_5:
	s_waitcnt vmcnt(0)
	v_div_scale_f32 v0, null, v6, v6, v5
	v_rcp_f32_e32 v3, v0
	v_fma_f32 v4, -v0, v3, 1.0
	v_fmac_f32_e32 v3, v4, v3
	v_div_scale_f32 v4, vcc_lo, v5, v6, v5
	v_mul_f32_e32 v7, v4, v3
	v_fma_f32 v8, -v0, v7, v4
	v_fmac_f32_e32 v7, v8, v3
	v_fma_f32 v0, -v0, v7, v4
	v_div_fmas_f32 v0, v0, v3, v7
	v_div_fixup_f32 v0, v0, v6, v5
	global_store_dword v[1:2], v0, off
.LBB14_6:
	s_endpgm
	.section	.rodata,"a",@progbits
	.p2align	6, 0x0
	.amdhsa_kernel _ZL33flash_attn_stream_k_fixup_uniformILi128ELi2ELi8EEvPfPK15HIP_vector_typeIfLj2EEiiiiiiS1_IjLj3EES5_S5_
		.amdhsa_group_segment_fixed_size 0
		.amdhsa_private_segment_fixed_size 0
		.amdhsa_kernarg_size 76
		.amdhsa_user_sgpr_count 6
		.amdhsa_user_sgpr_private_segment_buffer 1
		.amdhsa_user_sgpr_dispatch_ptr 0
		.amdhsa_user_sgpr_queue_ptr 0
		.amdhsa_user_sgpr_kernarg_segment_ptr 1
		.amdhsa_user_sgpr_dispatch_id 0
		.amdhsa_user_sgpr_flat_scratch_init 0
		.amdhsa_user_sgpr_private_segment_size 0
		.amdhsa_wavefront_size32 1
		.amdhsa_uses_dynamic_stack 0
		.amdhsa_system_sgpr_private_segment_wavefront_offset 0
		.amdhsa_system_sgpr_workgroup_id_x 1
		.amdhsa_system_sgpr_workgroup_id_y 1
		.amdhsa_system_sgpr_workgroup_id_z 1
		.amdhsa_system_sgpr_workgroup_info 0
		.amdhsa_system_vgpr_workitem_id 0
		.amdhsa_next_free_vgpr 15
		.amdhsa_next_free_sgpr 24
		.amdhsa_reserve_vcc 1
		.amdhsa_reserve_flat_scratch 0
		.amdhsa_float_round_mode_32 0
		.amdhsa_float_round_mode_16_64 0
		.amdhsa_float_denorm_mode_32 3
		.amdhsa_float_denorm_mode_16_64 3
		.amdhsa_dx10_clamp 1
		.amdhsa_ieee_mode 1
		.amdhsa_fp16_overflow 0
		.amdhsa_workgroup_processor_mode 1
		.amdhsa_memory_ordered 1
		.amdhsa_forward_progress 1
		.amdhsa_shared_vgpr_count 0
		.amdhsa_exception_fp_ieee_invalid_op 0
		.amdhsa_exception_fp_denorm_src 0
		.amdhsa_exception_fp_ieee_div_zero 0
		.amdhsa_exception_fp_ieee_overflow 0
		.amdhsa_exception_fp_ieee_underflow 0
		.amdhsa_exception_fp_ieee_inexact 0
		.amdhsa_exception_int_div_zero 0
	.end_amdhsa_kernel
	.section	.text._ZL33flash_attn_stream_k_fixup_uniformILi128ELi2ELi8EEvPfPK15HIP_vector_typeIfLj2EEiiiiiiS1_IjLj3EES5_S5_,"axG",@progbits,_ZL33flash_attn_stream_k_fixup_uniformILi128ELi2ELi8EEvPfPK15HIP_vector_typeIfLj2EEiiiiiiS1_IjLj3EES5_S5_,comdat
.Lfunc_end14:
	.size	_ZL33flash_attn_stream_k_fixup_uniformILi128ELi2ELi8EEvPfPK15HIP_vector_typeIfLj2EEiiiiiiS1_IjLj3EES5_S5_, .Lfunc_end14-_ZL33flash_attn_stream_k_fixup_uniformILi128ELi2ELi8EEvPfPK15HIP_vector_typeIfLj2EEiiiiiiS1_IjLj3EES5_S5_
                                        ; -- End function
	.set _ZL33flash_attn_stream_k_fixup_uniformILi128ELi2ELi8EEvPfPK15HIP_vector_typeIfLj2EEiiiiiiS1_IjLj3EES5_S5_.num_vgpr, 15
	.set _ZL33flash_attn_stream_k_fixup_uniformILi128ELi2ELi8EEvPfPK15HIP_vector_typeIfLj2EEiiiiiiS1_IjLj3EES5_S5_.num_agpr, 0
	.set _ZL33flash_attn_stream_k_fixup_uniformILi128ELi2ELi8EEvPfPK15HIP_vector_typeIfLj2EEiiiiiiS1_IjLj3EES5_S5_.numbered_sgpr, 24
	.set _ZL33flash_attn_stream_k_fixup_uniformILi128ELi2ELi8EEvPfPK15HIP_vector_typeIfLj2EEiiiiiiS1_IjLj3EES5_S5_.num_named_barrier, 0
	.set _ZL33flash_attn_stream_k_fixup_uniformILi128ELi2ELi8EEvPfPK15HIP_vector_typeIfLj2EEiiiiiiS1_IjLj3EES5_S5_.private_seg_size, 0
	.set _ZL33flash_attn_stream_k_fixup_uniformILi128ELi2ELi8EEvPfPK15HIP_vector_typeIfLj2EEiiiiiiS1_IjLj3EES5_S5_.uses_vcc, 1
	.set _ZL33flash_attn_stream_k_fixup_uniformILi128ELi2ELi8EEvPfPK15HIP_vector_typeIfLj2EEiiiiiiS1_IjLj3EES5_S5_.uses_flat_scratch, 0
	.set _ZL33flash_attn_stream_k_fixup_uniformILi128ELi2ELi8EEvPfPK15HIP_vector_typeIfLj2EEiiiiiiS1_IjLj3EES5_S5_.has_dyn_sized_stack, 0
	.set _ZL33flash_attn_stream_k_fixup_uniformILi128ELi2ELi8EEvPfPK15HIP_vector_typeIfLj2EEiiiiiiS1_IjLj3EES5_S5_.has_recursion, 0
	.set _ZL33flash_attn_stream_k_fixup_uniformILi128ELi2ELi8EEvPfPK15HIP_vector_typeIfLj2EEiiiiiiS1_IjLj3EES5_S5_.has_indirect_call, 0
	.section	.AMDGPU.csdata,"",@progbits
; Kernel info:
; codeLenInByte = 848
; TotalNumSgprs: 26
; NumVgprs: 15
; ScratchSize: 0
; MemoryBound: 0
; FloatMode: 240
; IeeeMode: 1
; LDSByteSize: 0 bytes/workgroup (compile time only)
; SGPRBlocks: 0
; VGPRBlocks: 1
; NumSGPRsForWavesPerEU: 26
; NumVGPRsForWavesPerEU: 15
; Occupancy: 16
; WaveLimiterHint : 0
; COMPUTE_PGM_RSRC2:SCRATCH_EN: 0
; COMPUTE_PGM_RSRC2:USER_SGPR: 6
; COMPUTE_PGM_RSRC2:TRAP_HANDLER: 0
; COMPUTE_PGM_RSRC2:TGID_X_EN: 1
; COMPUTE_PGM_RSRC2:TGID_Y_EN: 1
; COMPUTE_PGM_RSRC2:TGID_Z_EN: 1
; COMPUTE_PGM_RSRC2:TIDIG_COMP_CNT: 0
	.section	.text._ZL33flash_attn_stream_k_fixup_generalILi128ELi2ELi8EEvPfPK15HIP_vector_typeIfLj2EEiiiiS1_IjLj3EES5_S5_S5_,"axG",@progbits,_ZL33flash_attn_stream_k_fixup_generalILi128ELi2ELi8EEvPfPK15HIP_vector_typeIfLj2EEiiiiS1_IjLj3EES5_S5_S5_,comdat
	.globl	_ZL33flash_attn_stream_k_fixup_generalILi128ELi2ELi8EEvPfPK15HIP_vector_typeIfLj2EEiiiiS1_IjLj3EES5_S5_S5_ ; -- Begin function _ZL33flash_attn_stream_k_fixup_generalILi128ELi2ELi8EEvPfPK15HIP_vector_typeIfLj2EEiiiiS1_IjLj3EES5_S5_S5_
	.p2align	8
	.type	_ZL33flash_attn_stream_k_fixup_generalILi128ELi2ELi8EEvPfPK15HIP_vector_typeIfLj2EEiiiiS1_IjLj3EES5_S5_S5_,@function
_ZL33flash_attn_stream_k_fixup_generalILi128ELi2ELi8EEvPfPK15HIP_vector_typeIfLj2EEiiiiS1_IjLj3EES5_S5_S5_: ; @_ZL33flash_attn_stream_k_fixup_generalILi128ELi2ELi8EEvPfPK15HIP_vector_typeIfLj2EEiiiiS1_IjLj3EES5_S5_S5_
; %bb.0:
	s_clause 0x1
	s_load_dwordx4 s[0:3], s[4:5], 0x10
	s_load_dword s9, s[4:5], 0x50
	s_mov_b32 s16, 0
	s_waitcnt lgkmcnt(0)
	s_mul_hi_i32 s17, s3, s6
	s_mul_i32 s18, s3, s6
	s_cmp_lg_u64 s[16:17], 0
	s_cbranch_scc0 .LBB15_21
; %bb.1:
	s_add_u32 s10, s9, 0
	s_addc_u32 s11, 0, 0
	s_xor_b64 s[10:11], s[10:11], 0
	v_cvt_f32_u32_e32 v1, s10
	v_cvt_f32_u32_e32 v2, s11
	s_sub_u32 s14, 0, s10
	s_subb_u32 s15, 0, s11
	v_fmamk_f32 v1, v2, 0x4f800000, v1
	v_rcp_f32_e32 v1, v1
	v_mul_f32_e32 v1, 0x5f7ffffc, v1
	v_mul_f32_e32 v2, 0x2f800000, v1
	v_trunc_f32_e32 v2, v2
	v_fmamk_f32 v1, v2, 0xcf800000, v1
	v_cvt_u32_f32_e32 v2, v2
	v_cvt_u32_f32_e32 v1, v1
	v_readfirstlane_b32 s12, v2
	v_readfirstlane_b32 s13, v1
	s_mul_i32 s19, s14, s12
	s_mul_hi_u32 s21, s14, s13
	s_mul_i32 s20, s15, s13
	s_add_i32 s19, s21, s19
	s_mul_i32 s22, s14, s13
	s_add_i32 s19, s19, s20
	s_mul_hi_u32 s21, s13, s22
	s_mul_i32 s24, s13, s19
	s_mul_hi_u32 s23, s12, s22
	s_mul_i32 s20, s12, s22
	s_mul_hi_u32 s22, s13, s19
	s_add_u32 s21, s21, s24
	s_addc_u32 s22, 0, s22
	s_mul_hi_u32 s25, s12, s19
	s_add_u32 s20, s21, s20
	s_mul_i32 s19, s12, s19
	s_addc_u32 s20, s22, s23
	s_addc_u32 s21, s25, 0
	s_add_u32 s19, s20, s19
	s_addc_u32 s20, 0, s21
	s_add_u32 s13, s13, s19
	s_cselect_b32 s19, -1, 0
	s_mul_hi_u32 s21, s14, s13
	s_cmp_lg_u32 s19, 0
	s_mul_i32 s19, s14, s13
	s_addc_u32 s12, s12, s20
	s_mul_i32 s15, s15, s13
	s_mul_i32 s14, s14, s12
	s_mul_hi_u32 s20, s13, s19
	s_add_i32 s14, s21, s14
	s_mul_hi_u32 s21, s12, s19
	s_add_i32 s14, s14, s15
	s_mul_i32 s15, s12, s19
	s_mul_i32 s23, s13, s14
	s_mul_hi_u32 s22, s13, s14
	s_add_u32 s20, s20, s23
	s_addc_u32 s22, 0, s22
	s_mul_hi_u32 s19, s12, s14
	s_add_u32 s15, s20, s15
	s_mul_i32 s14, s12, s14
	s_addc_u32 s15, s22, s21
	s_addc_u32 s19, s19, 0
	s_add_u32 s14, s15, s14
	s_addc_u32 s15, 0, s19
	s_add_u32 s19, s13, s14
	s_cselect_b32 s13, -1, 0
	s_cmp_lg_u32 s13, 0
	s_addc_u32 s20, s12, s15
	s_ashr_i32 s12, s17, 31
	s_add_u32 s14, s18, s12
	s_mov_b32 s13, s12
	s_addc_u32 s15, s17, s12
	s_xor_b64 s[14:15], s[14:15], s[12:13]
	s_mul_i32 s21, s14, s20
	s_mul_hi_u32 s22, s14, s19
	s_mul_hi_u32 s17, s14, s20
	;; [unrolled: 1-line block ×3, first 2 shown]
	s_mul_i32 s19, s15, s19
	s_add_u32 s21, s22, s21
	s_addc_u32 s17, 0, s17
	s_mul_hi_u32 s23, s15, s20
	s_add_u32 s19, s21, s19
	s_mul_i32 s20, s15, s20
	s_addc_u32 s17, s17, s24
	s_addc_u32 s19, s23, 0
	s_add_u32 s17, s17, s20
	s_addc_u32 s19, 0, s19
	s_mul_hi_u32 s20, s10, s17
	s_mul_i32 s21, s10, s19
	s_mul_i32 s22, s11, s17
	s_add_i32 s20, s20, s21
	s_mul_i32 s21, s10, s17
	s_add_i32 s20, s20, s22
	s_sub_i32 s22, s15, s20
	s_sub_u32 s14, s14, s21
	s_cselect_b32 s21, -1, 0
	s_cmp_lg_u32 s21, 0
	s_subb_u32 s22, s22, s11
	s_sub_u32 s23, s14, s10
	s_cselect_b32 s24, -1, 0
	s_cmp_lg_u32 s24, 0
	s_subb_u32 s22, s22, 0
	s_cmp_ge_u32 s22, s11
	s_cselect_b32 s24, -1, 0
	s_cmp_ge_u32 s23, s10
	s_cselect_b32 s23, -1, 0
	s_cmp_eq_u32 s22, s11
	s_cselect_b32 s22, s23, s24
	s_add_u32 s23, s17, 1
	s_addc_u32 s24, s19, 0
	s_add_u32 s25, s17, 2
	s_addc_u32 s26, s19, 0
	s_cmp_lg_u32 s22, 0
	s_cselect_b32 s22, s25, s23
	s_cselect_b32 s23, s26, s24
	s_cmp_lg_u32 s21, 0
	s_subb_u32 s15, s15, s20
	s_cmp_ge_u32 s15, s11
	s_cselect_b32 s20, -1, 0
	s_cmp_ge_u32 s14, s10
	s_cselect_b32 s10, -1, 0
	s_cmp_eq_u32 s15, s11
	s_cselect_b32 s10, s10, s20
	s_cmp_lg_u32 s10, 0
	s_cselect_b32 s11, s23, s19
	s_cselect_b32 s10, s22, s17
	s_xor_b64 s[12:13], s[12:13], 0
	s_xor_b64 s[10:11], s[10:11], s[12:13]
	s_sub_u32 s10, s10, s12
	s_load_dwordx4 s[12:15], s[4:5], 0x44
	s_andn2_b32 vcc_lo, exec_lo, s16
	s_cbranch_vccnz .LBB15_3
.LBB15_2:
	v_cvt_f32_u32_e32 v1, s9
	s_sub_i32 s11, 0, s9
	v_rcp_iflag_f32_e32 v1, v1
	v_mul_f32_e32 v1, 0x4f7ffffe, v1
	v_cvt_u32_f32_e32 v1, v1
	v_readfirstlane_b32 s10, v1
	s_mul_i32 s11, s11, s10
	s_mul_hi_u32 s11, s10, s11
	s_add_i32 s10, s10, s11
	s_mul_hi_u32 s10, s18, s10
	s_mul_i32 s11, s10, s9
	s_waitcnt lgkmcnt(0)
	s_add_i32 s15, s10, 1
	s_sub_i32 s11, s18, s11
	s_sub_i32 s16, s11, s9
	s_cmp_ge_u32 s11, s9
	s_cselect_b32 s10, s15, s10
	s_cselect_b32 s11, s16, s11
	s_add_i32 s15, s10, 1
	s_cmp_ge_u32 s11, s9
	s_cselect_b32 s10, s15, s10
.LBB15_3:
	s_add_i32 s11, s6, 1
	s_mov_b32 s16, 0
	s_mul_hi_i32 s17, s3, s11
	s_mul_i32 s11, s3, s11
	s_cmp_lg_u64 s[16:17], 0
	s_cbranch_scc0 .LBB15_22
; %bb.4:
	s_add_u32 s18, s9, 0
	s_addc_u32 s19, 0, 0
	s_xor_b64 s[18:19], s[18:19], 0
	v_cvt_f32_u32_e32 v1, s18
	v_cvt_f32_u32_e32 v2, s19
	s_sub_u32 s21, 0, s18
	s_subb_u32 s22, 0, s19
	v_fmamk_f32 v1, v2, 0x4f800000, v1
	v_rcp_f32_e32 v1, v1
	v_mul_f32_e32 v1, 0x5f7ffffc, v1
	v_mul_f32_e32 v2, 0x2f800000, v1
	v_trunc_f32_e32 v2, v2
	v_fmamk_f32 v1, v2, 0xcf800000, v1
	v_cvt_u32_f32_e32 v2, v2
	v_cvt_u32_f32_e32 v1, v1
	s_waitcnt lgkmcnt(0)
	v_readfirstlane_b32 s15, v2
	v_readfirstlane_b32 s20, v1
	s_mul_i32 s23, s21, s15
	s_mul_hi_u32 s25, s21, s20
	s_mul_i32 s24, s22, s20
	s_add_i32 s23, s25, s23
	s_mul_i32 s26, s21, s20
	s_add_i32 s23, s23, s24
	s_mul_hi_u32 s25, s20, s26
	s_mul_i32 s28, s20, s23
	s_mul_hi_u32 s27, s15, s26
	s_mul_i32 s24, s15, s26
	s_mul_hi_u32 s26, s20, s23
	s_add_u32 s25, s25, s28
	s_addc_u32 s26, 0, s26
	s_mul_hi_u32 s29, s15, s23
	s_add_u32 s24, s25, s24
	s_mul_i32 s23, s15, s23
	s_addc_u32 s24, s26, s27
	s_addc_u32 s25, s29, 0
	s_add_u32 s23, s24, s23
	s_addc_u32 s24, 0, s25
	s_add_u32 s20, s20, s23
	s_cselect_b32 s23, -1, 0
	s_mul_hi_u32 s25, s21, s20
	s_cmp_lg_u32 s23, 0
	s_mul_i32 s23, s21, s20
	s_addc_u32 s15, s15, s24
	s_mul_i32 s22, s22, s20
	s_mul_i32 s21, s21, s15
	s_mul_hi_u32 s24, s20, s23
	s_add_i32 s21, s25, s21
	s_mul_hi_u32 s25, s15, s23
	s_add_i32 s21, s21, s22
	s_mul_i32 s22, s15, s23
	s_mul_i32 s27, s20, s21
	s_mul_hi_u32 s26, s20, s21
	s_add_u32 s24, s24, s27
	s_addc_u32 s26, 0, s26
	s_mul_hi_u32 s23, s15, s21
	s_add_u32 s22, s24, s22
	s_mul_i32 s21, s15, s21
	s_addc_u32 s22, s26, s25
	s_addc_u32 s23, s23, 0
	s_add_u32 s21, s22, s21
	s_addc_u32 s22, 0, s23
	s_add_u32 s24, s20, s21
	s_cselect_b32 s20, -1, 0
	s_cmp_lg_u32 s20, 0
	s_addc_u32 s15, s15, s22
	s_ashr_i32 s20, s17, 31
	s_add_u32 s22, s11, s20
	s_mov_b32 s21, s20
	s_addc_u32 s23, s17, s20
	s_xor_b64 s[22:23], s[22:23], s[20:21]
	s_mul_i32 s25, s22, s15
	s_mul_hi_u32 s26, s22, s24
	s_mul_hi_u32 s17, s22, s15
	;; [unrolled: 1-line block ×3, first 2 shown]
	s_mul_i32 s24, s23, s24
	s_add_u32 s25, s26, s25
	s_addc_u32 s17, 0, s17
	s_mul_hi_u32 s27, s23, s15
	s_add_u32 s24, s25, s24
	s_mul_i32 s15, s23, s15
	s_addc_u32 s17, s17, s28
	s_addc_u32 s24, s27, 0
	s_add_u32 s15, s17, s15
	s_addc_u32 s17, 0, s24
	s_mul_hi_u32 s24, s18, s15
	s_mul_i32 s25, s18, s17
	s_mul_i32 s26, s19, s15
	s_add_i32 s24, s24, s25
	s_mul_i32 s25, s18, s15
	s_add_i32 s24, s24, s26
	s_sub_i32 s26, s23, s24
	s_sub_u32 s22, s22, s25
	s_cselect_b32 s25, -1, 0
	s_cmp_lg_u32 s25, 0
	s_subb_u32 s26, s26, s19
	s_sub_u32 s27, s22, s18
	s_cselect_b32 s28, -1, 0
	s_cmp_lg_u32 s28, 0
	s_subb_u32 s26, s26, 0
	s_cmp_ge_u32 s26, s19
	s_cselect_b32 s28, -1, 0
	s_cmp_ge_u32 s27, s18
	s_cselect_b32 s27, -1, 0
	s_cmp_eq_u32 s26, s19
	s_cselect_b32 s26, s27, s28
	s_add_u32 s27, s15, 1
	s_addc_u32 s28, s17, 0
	s_add_u32 s29, s15, 2
	s_addc_u32 s30, s17, 0
	s_cmp_lg_u32 s26, 0
	s_cselect_b32 s26, s29, s27
	s_cselect_b32 s27, s30, s28
	s_cmp_lg_u32 s25, 0
	s_subb_u32 s23, s23, s24
	s_cmp_ge_u32 s23, s19
	s_cselect_b32 s24, -1, 0
	s_cmp_ge_u32 s22, s18
	s_cselect_b32 s18, -1, 0
	s_cmp_eq_u32 s23, s19
	s_cselect_b32 s18, s18, s24
	s_cmp_lg_u32 s18, 0
	s_cselect_b32 s19, s27, s17
	s_cselect_b32 s18, s26, s15
	s_xor_b64 s[20:21], s[20:21], 0
	s_xor_b64 s[18:19], s[18:19], s[20:21]
	s_sub_u32 s18, s18, s20
	s_andn2_b32 vcc_lo, exec_lo, s16
	s_cbranch_vccnz .LBB15_6
.LBB15_5:
	v_cvt_f32_u32_e32 v1, s9
	s_sub_i32 s16, 0, s9
	v_rcp_iflag_f32_e32 v1, v1
	v_mul_f32_e32 v1, 0x4f7ffffe, v1
	v_cvt_u32_f32_e32 v1, v1
	s_waitcnt lgkmcnt(0)
	v_readfirstlane_b32 s15, v1
	s_mul_i32 s16, s16, s15
	s_mul_hi_u32 s16, s15, s16
	s_add_i32 s15, s15, s16
	s_mul_hi_u32 s15, s11, s15
	s_mul_i32 s16, s15, s9
	s_sub_i32 s11, s11, s16
	s_add_i32 s16, s15, 1
	s_sub_i32 s17, s11, s9
	s_cmp_ge_u32 s11, s9
	s_cselect_b32 s15, s16, s15
	s_cselect_b32 s11, s17, s11
	s_add_i32 s16, s15, 1
	s_cmp_ge_u32 s11, s9
	s_cselect_b32 s18, s16, s15
.LBB15_6:
	s_cmp_eq_u32 s10, s18
	s_waitcnt lgkmcnt(0)
	s_mul_hi_u32 s11, s10, s12
	s_cselect_b32 s15, -1, 0
	s_add_i32 s11, s11, s10
	s_lshr_b32 s11, s11, s13
	s_mul_i32 s16, s11, s14
	s_cmp_eq_u32 s16, s10
	s_mul_hi_u32 s16, s18, s12
	s_cselect_b32 s17, -1, 0
	s_add_i32 s16, s16, s18
	s_lshr_b32 s16, s16, s13
	s_cmp_eq_u32 s11, s16
	s_mul_i32 s16, s16, s14
	s_cselect_b32 s19, -1, 0
	s_cmp_lg_u32 s16, s18
	s_cselect_b32 s16, -1, 0
	s_or_b32 s15, s15, s17
	s_and_b32 s16, s19, s16
	s_or_b32 s15, s15, s16
	s_and_b32 vcc_lo, exec_lo, s15
	s_cbranch_vccnz .LBB15_24
; %bb.7:
	s_clause 0x1
	s_load_dwordx8 s[20:27], s[4:5], 0x20
	s_load_dword s16, s[4:5], 0x40
	s_waitcnt lgkmcnt(0)
	s_mul_hi_u32 s15, s10, s20
	s_add_i32 s15, s15, s10
	s_lshr_b32 s15, s15, s21
	s_mul_i32 s17, s15, s22
	s_sub_i32 s17, s10, s17
	s_mul_hi_u32 s18, s17, s23
	s_add_i32 s18, s17, s18
	s_lshr_b32 s22, s18, s24
	s_mul_i32 s18, s22, s25
	s_sub_i32 s17, s17, s18
	s_mul_hi_u32 s18, s17, s26
	s_add_i32 s18, s17, s18
	s_lshr_b32 s18, s18, s27
	s_mul_i32 s16, s18, s16
	s_lshl_b32 s24, s18, 3
	s_sub_i32 s16, s17, s16
	s_mul_hi_u32 s17, s16, s12
	s_add_i32 s16, s16, s17
	s_lshr_b32 s23, s16, s13
	s_lshl_b32 s16, s23, 1
	s_add_i32 s16, s16, s7
	s_cmp_lt_i32 s16, s0
	s_cselect_b32 s16, -1, 0
	s_add_i32 s17, s24, s8
	s_cmp_lt_i32 s17, s2
	s_cselect_b32 s17, -1, 0
	s_and_b32 s16, s16, s17
	s_andn2_b32 vcc_lo, exec_lo, s16
	s_cbranch_vccnz .LBB15_24
; %bb.8:
	s_load_dwordx4 s[16:19], s[4:5], 0x0
	s_mov_b32 s4, 0
	s_lshl_b32 s20, s9, 6
	s_mov_b32 s21, s4
	s_lshl_b32 s5, s7, 3
	s_lshl_b64 s[20:21], s[20:21], 2
	s_mul_i32 s0, s15, s0
	s_add_i32 s15, s5, s8
	s_mul_i32 s22, s22, s2
	v_cvt_f32_u32_e32 v4, s9
	v_rcp_iflag_f32_e32 v4, v4
	s_waitcnt lgkmcnt(0)
	s_add_u32 s20, s18, s20
	s_addc_u32 s21, s19, s21
	s_add_i32 s0, s0, s7
	s_mul_i32 s0, s0, s1
	s_mul_i32 s1, s1, s23
	s_add_i32 s0, s0, s8
	s_lshl_b32 s1, s1, 8
	s_add_i32 s0, s0, s22
	v_mul_f32_e32 v4, 0x4f7ffffe, v4
	s_add_i32 s0, s0, s24
	s_lshl_b32 s0, s0, 7
	s_add_i32 s1, s1, s0
	s_lshl_b32 s0, s6, 4
	v_or_b32_e32 v1, s1, v0
	s_add_i32 s0, s15, s0
	v_lshl_or_b32 v0, s15, 7, v0
	s_ashr_i32 s1, s0, 31
	v_cvt_u32_f32_e32 v4, v4
	v_ashrrev_i32_e32 v2, 31, v1
	s_lshl_b64 s[0:1], s[0:1], 3
	s_add_u32 s0, s18, s0
	s_addc_u32 s1, s19, s1
	v_lshlrev_b64 v[1:2], 2, v[1:2]
	s_load_dwordx2 s[0:1], s[0:1], 0x0
	s_add_i32 s8, s6, -1
	s_sub_i32 s2, 0, s9
	v_add_co_u32 v1, vcc_lo, s16, v1
	v_add_co_ci_u32_e64 v2, null, s17, v2, vcc_lo
	global_load_dword v3, v[1:2], off
	s_waitcnt lgkmcnt(0)
	v_mov_b32_e32 v5, s1
	v_mov_b32_e32 v6, s0
.LBB15_9:                               ; =>This Inner Loop Header: Depth=1
	s_mul_hi_i32 s5, s8, s3
	s_mul_i32 s6, s8, s3
	s_cmp_lg_u64 s[4:5], 0
	s_mov_b32 s7, -1
                                        ; implicit-def: $sgpr0_sgpr1
	s_cbranch_scc0 .LBB15_11
; %bb.10:                               ;   in Loop: Header=BB15_9 Depth=1
	s_add_u32 s0, s9, 0
	s_addc_u32 s1, 0, 0
	s_xor_b64 s[0:1], s[0:1], 0
	v_cvt_f32_u32_e32 v7, s0
	v_cvt_f32_u32_e32 v8, s1
	s_sub_u32 s17, 0, s0
	s_subb_u32 s22, 0, s1
	v_fmac_f32_e32 v7, 0x4f800000, v8
	v_rcp_f32_e32 v7, v7
	v_mul_f32_e32 v7, 0x5f7ffffc, v7
	v_mul_f32_e32 v8, 0x2f800000, v7
	v_trunc_f32_e32 v8, v8
	v_fmac_f32_e32 v7, 0xcf800000, v8
	v_cvt_u32_f32_e32 v8, v8
	v_cvt_u32_f32_e32 v7, v7
	v_readfirstlane_b32 s7, v8
	v_readfirstlane_b32 s16, v7
	s_mul_i32 s23, s17, s7
	s_mul_hi_u32 s25, s17, s16
	s_mul_i32 s24, s22, s16
	s_add_i32 s23, s25, s23
	s_mul_i32 s26, s17, s16
	s_add_i32 s23, s23, s24
	s_mul_hi_u32 s25, s16, s26
	s_mul_i32 s28, s16, s23
	s_mul_hi_u32 s27, s7, s26
	s_mul_i32 s24, s7, s26
	s_mul_hi_u32 s26, s16, s23
	s_add_u32 s25, s25, s28
	s_addc_u32 s26, 0, s26
	s_mul_hi_u32 s29, s7, s23
	s_add_u32 s24, s25, s24
	s_mul_i32 s23, s7, s23
	s_addc_u32 s24, s26, s27
	s_addc_u32 s25, s29, 0
	s_add_u32 s23, s24, s23
	s_addc_u32 s24, 0, s25
	s_add_u32 s16, s16, s23
	s_cselect_b32 s23, -1, 0
	s_mul_hi_u32 s25, s17, s16
	s_cmp_lg_u32 s23, 0
	s_mul_i32 s23, s17, s16
	s_addc_u32 s7, s7, s24
	s_mul_i32 s22, s22, s16
	s_mul_i32 s17, s17, s7
	s_mul_hi_u32 s24, s16, s23
	s_add_i32 s17, s25, s17
	s_mul_hi_u32 s25, s7, s23
	s_add_i32 s17, s17, s22
	s_mul_i32 s22, s7, s23
	s_mul_i32 s27, s16, s17
	s_mul_hi_u32 s26, s16, s17
	s_add_u32 s24, s24, s27
	s_addc_u32 s26, 0, s26
	s_mul_hi_u32 s23, s7, s17
	s_add_u32 s22, s24, s22
	s_mul_i32 s17, s7, s17
	s_addc_u32 s22, s26, s25
	s_addc_u32 s23, s23, 0
	s_add_u32 s17, s22, s17
	s_addc_u32 s22, 0, s23
	s_add_u32 s24, s16, s17
	s_cselect_b32 s16, -1, 0
	s_cmp_lg_u32 s16, 0
	s_addc_u32 s7, s7, s22
	s_ashr_i32 s16, s5, 31
	s_add_u32 s22, s6, s16
	s_mov_b32 s17, s16
	s_addc_u32 s23, s5, s16
	s_xor_b64 s[22:23], s[22:23], s[16:17]
	s_mul_i32 s25, s22, s7
	s_mul_hi_u32 s26, s22, s24
	s_mul_hi_u32 s5, s22, s7
	;; [unrolled: 1-line block ×3, first 2 shown]
	s_mul_i32 s24, s23, s24
	s_add_u32 s25, s26, s25
	s_addc_u32 s5, 0, s5
	s_mul_hi_u32 s27, s23, s7
	s_add_u32 s24, s25, s24
	s_mul_i32 s7, s23, s7
	s_addc_u32 s5, s5, s28
	s_addc_u32 s24, s27, 0
	s_add_u32 s5, s5, s7
	s_addc_u32 s7, 0, s24
	s_mul_hi_u32 s24, s0, s5
	s_mul_i32 s25, s0, s7
	s_mul_i32 s26, s1, s5
	s_add_i32 s24, s24, s25
	s_mul_i32 s25, s0, s5
	s_add_i32 s24, s24, s26
	s_sub_i32 s26, s23, s24
	s_sub_u32 s22, s22, s25
	s_cselect_b32 s25, -1, 0
	s_cmp_lg_u32 s25, 0
	s_subb_u32 s26, s26, s1
	s_sub_u32 s27, s22, s0
	s_cselect_b32 s28, -1, 0
	s_cmp_lg_u32 s28, 0
	s_subb_u32 s26, s26, 0
	s_cmp_ge_u32 s26, s1
	s_cselect_b32 s28, -1, 0
	s_cmp_ge_u32 s27, s0
	s_cselect_b32 s27, -1, 0
	s_cmp_eq_u32 s26, s1
	s_cselect_b32 s26, s27, s28
	s_add_u32 s27, s5, 1
	s_addc_u32 s28, s7, 0
	s_add_u32 s29, s5, 2
	s_addc_u32 s30, s7, 0
	s_cmp_lg_u32 s26, 0
	s_cselect_b32 s26, s29, s27
	s_cselect_b32 s27, s30, s28
	s_cmp_lg_u32 s25, 0
	s_subb_u32 s23, s23, s24
	s_cmp_ge_u32 s23, s1
	s_cselect_b32 s24, -1, 0
	s_cmp_ge_u32 s22, s0
	s_cselect_b32 s0, -1, 0
	s_cmp_eq_u32 s23, s1
	s_cselect_b32 s0, s0, s24
	s_cmp_lg_u32 s0, 0
	s_cselect_b32 s1, s27, s7
	s_cselect_b32 s0, s26, s5
	s_xor_b64 s[16:17], s[16:17], 0
	s_mov_b32 s7, 0
	s_xor_b64 s[0:1], s[0:1], s[16:17]
	s_sub_u32 s0, s0, s16
.LBB15_11:                              ;   in Loop: Header=BB15_9 Depth=1
	s_andn2_b32 vcc_lo, exec_lo, s7
	s_cbranch_vccnz .LBB15_13
; %bb.12:                               ;   in Loop: Header=BB15_9 Depth=1
	v_readfirstlane_b32 s0, v4
	s_mul_i32 s1, s2, s0
	s_mul_hi_u32 s1, s0, s1
	s_add_i32 s0, s0, s1
	s_mul_hi_u32 s0, s6, s0
	s_mul_i32 s1, s0, s9
	s_add_i32 s5, s0, 1
	s_sub_i32 s1, s6, s1
	s_sub_i32 s6, s1, s9
	s_cmp_ge_u32 s1, s9
	s_cselect_b32 s0, s5, s0
	s_cselect_b32 s1, s6, s1
	s_add_i32 s5, s0, 1
	s_cmp_ge_u32 s1, s9
	s_cselect_b32 s0, s5, s0
.LBB15_13:                              ;   in Loop: Header=BB15_9 Depth=1
	s_cmp_lg_u32 s10, s0
	s_mov_b32 s6, -1
                                        ; implicit-def: $sgpr5
                                        ; implicit-def: $vgpr8
                                        ; implicit-def: $vgpr7
                                        ; implicit-def: $vgpr9
                                        ; implicit-def: $sgpr1
                                        ; implicit-def: $sgpr16
	s_cbranch_scc0 .LBB15_18
; %bb.14:                               ;   in Loop: Header=BB15_9 Depth=1
	s_add_i32 s1, s8, s9
	s_mov_b32 s7, s4
	s_lshl_b32 s1, s1, 4
	s_mov_b32 s16, s10
	s_add_i32 s6, s1, s15
	s_mul_hi_u32 s1, s0, s12
	s_lshl_b64 s[6:7], s[6:7], 3
	s_add_u32 s6, s18, s6
	s_addc_u32 s7, s19, s7
	s_add_i32 s1, s1, s0
	s_lshr_b32 s1, s1, s13
	s_mul_i32 s5, s1, s14
	s_cmp_eq_u32 s5, s0
	s_cselect_b32 s5, -1, 0
	s_cmp_lt_u32 s1, s11
	s_cselect_b32 s1, -1, 0
	s_or_b32 s1, s1, s5
	s_mov_b32 s5, -1
	s_and_b32 vcc_lo, exec_lo, s1
	s_mov_b32 s1, s8
	s_cbranch_vccnz .LBB15_16
; %bb.15:                               ;   in Loop: Header=BB15_9 Depth=1
	s_add_i32 s1, s8, -1
	s_mov_b32 s5, 0
	s_mov_b32 s16, s0
.LBB15_16:                              ;   in Loop: Header=BB15_9 Depth=1
	v_lshl_add_u32 v7, s8, 11, v0
	s_load_dwordx2 s[6:7], s[6:7], 0x0
	v_ashrrev_i32_e32 v8, 31, v7
	v_lshlrev_b64 v[7:8], 2, v[7:8]
	v_add_co_u32 v7, vcc_lo, s20, v7
	v_add_co_ci_u32_e64 v8, null, s21, v8, vcc_lo
	s_waitcnt lgkmcnt(0)
	v_max_f32_e64 v9, s6, s6
	global_load_dword v8, v[7:8], off
	v_max_f32_e32 v7, v6, v6
	v_max_f32_e32 v7, v7, v9
	v_sub_f32_e32 v9, s6, v7
	v_sub_f32_e32 v10, v6, v7
	v_mul_f32_e32 v11, 0x3fb8aa3b, v9
	v_mul_f32_e32 v12, 0x3fb8aa3b, v10
	v_cmp_ngt_f32_e32 vcc_lo, 0xc2ce8ed0, v9
	v_fma_f32 v13, 0x3fb8aa3b, v9, -v11
	v_rndne_f32_e32 v14, v11
	v_fma_f32 v15, 0x3fb8aa3b, v10, -v12
	v_rndne_f32_e32 v16, v12
	v_fmac_f32_e32 v13, 0x32a5705f, v9
	v_sub_f32_e32 v11, v11, v14
	v_fmac_f32_e32 v15, 0x32a5705f, v10
	v_sub_f32_e32 v12, v12, v16
	v_add_f32_e32 v11, v11, v13
	v_cvt_i32_f32_e32 v13, v14
	v_add_f32_e32 v12, v12, v15
	v_cvt_i32_f32_e32 v14, v16
	v_exp_f32_e32 v11, v11
	v_exp_f32_e32 v12, v12
	v_ldexp_f32 v11, v11, v13
	v_ldexp_f32 v12, v12, v14
	v_cndmask_b32_e32 v11, 0, v11, vcc_lo
	v_cmp_ngt_f32_e32 vcc_lo, 0xc2ce8ed0, v10
	v_cndmask_b32_e32 v12, 0, v12, vcc_lo
	v_cmp_nlt_f32_e32 vcc_lo, 0x42b17218, v9
	v_cndmask_b32_e32 v11, 0x7f800000, v11, vcc_lo
	v_cmp_nlt_f32_e32 vcc_lo, 0x42b17218, v10
	v_cndmask_b32_e32 v12, 0x7f800000, v12, vcc_lo
	v_cmp_le_f32_e32 vcc_lo, 0xc1a00000, v9
	v_cndmask_b32_e32 v9, 0, v11, vcc_lo
	v_cmp_le_f32_e32 vcc_lo, 0xc1a00000, v10
	v_cndmask_b32_e32 v10, 0, v12, vcc_lo
	s_waitcnt vmcnt(0)
	v_mul_f32_e32 v8, v8, v9
	v_mul_f32_e32 v9, s7, v9
	v_fmac_f32_e32 v8, v3, v10
	v_fmac_f32_e32 v9, v5, v10
	s_cbranch_execz .LBB15_19
.LBB15_17:                              ;   in Loop: Header=BB15_9 Depth=1
	s_andn2_b32 vcc_lo, exec_lo, s5
	s_cbranch_vccnz .LBB15_20
	s_branch .LBB15_23
.LBB15_18:                              ;   in Loop: Header=BB15_9 Depth=1
	s_andn2_b32 vcc_lo, exec_lo, s6
	s_cbranch_vccnz .LBB15_17
.LBB15_19:                              ;   in Loop: Header=BB15_9 Depth=1
	v_mov_b32_e32 v9, v5
	v_mov_b32_e32 v7, v6
	s_waitcnt vmcnt(0)
	v_mov_b32_e32 v8, v3
	s_add_i32 s1, s8, -1
	s_mov_b32 s16, s10
	s_cbranch_execz .LBB15_23
.LBB15_20:                              ;   in Loop: Header=BB15_9 Depth=1
	v_mov_b32_e32 v5, v9
	v_mov_b32_e32 v6, v7
	s_waitcnt vmcnt(0)
	v_mov_b32_e32 v3, v8
	s_mov_b32 s10, s16
	s_mov_b32 s8, s1
	s_branch .LBB15_9
.LBB15_21:
                                        ; implicit-def: $sgpr10_sgpr11
	s_load_dwordx4 s[12:15], s[4:5], 0x44
	s_branch .LBB15_2
.LBB15_22:
                                        ; implicit-def: $sgpr18_sgpr19
	s_branch .LBB15_5
.LBB15_23:
	v_div_scale_f32 v0, null, v9, v9, v8
	s_waitcnt vmcnt(0)
	v_rcp_f32_e32 v3, v0
	v_fma_f32 v4, -v0, v3, 1.0
	v_fmac_f32_e32 v3, v4, v3
	v_div_scale_f32 v4, vcc_lo, v8, v9, v8
	v_mul_f32_e32 v5, v4, v3
	v_fma_f32 v6, -v0, v5, v4
	v_fmac_f32_e32 v5, v6, v3
	v_fma_f32 v0, -v0, v5, v4
	v_div_fmas_f32 v0, v0, v3, v5
	v_div_fixup_f32 v0, v0, v9, v8
	global_store_dword v[1:2], v0, off
.LBB15_24:
	s_endpgm
	.section	.rodata,"a",@progbits
	.p2align	6, 0x0
	.amdhsa_kernel _ZL33flash_attn_stream_k_fixup_generalILi128ELi2ELi8EEvPfPK15HIP_vector_typeIfLj2EEiiiiS1_IjLj3EES5_S5_S5_
		.amdhsa_group_segment_fixed_size 0
		.amdhsa_private_segment_fixed_size 0
		.amdhsa_kernarg_size 336
		.amdhsa_user_sgpr_count 6
		.amdhsa_user_sgpr_private_segment_buffer 1
		.amdhsa_user_sgpr_dispatch_ptr 0
		.amdhsa_user_sgpr_queue_ptr 0
		.amdhsa_user_sgpr_kernarg_segment_ptr 1
		.amdhsa_user_sgpr_dispatch_id 0
		.amdhsa_user_sgpr_flat_scratch_init 0
		.amdhsa_user_sgpr_private_segment_size 0
		.amdhsa_wavefront_size32 1
		.amdhsa_uses_dynamic_stack 0
		.amdhsa_system_sgpr_private_segment_wavefront_offset 0
		.amdhsa_system_sgpr_workgroup_id_x 1
		.amdhsa_system_sgpr_workgroup_id_y 1
		.amdhsa_system_sgpr_workgroup_id_z 1
		.amdhsa_system_sgpr_workgroup_info 0
		.amdhsa_system_vgpr_workitem_id 0
		.amdhsa_next_free_vgpr 17
		.amdhsa_next_free_sgpr 31
		.amdhsa_reserve_vcc 1
		.amdhsa_reserve_flat_scratch 0
		.amdhsa_float_round_mode_32 0
		.amdhsa_float_round_mode_16_64 0
		.amdhsa_float_denorm_mode_32 3
		.amdhsa_float_denorm_mode_16_64 3
		.amdhsa_dx10_clamp 1
		.amdhsa_ieee_mode 1
		.amdhsa_fp16_overflow 0
		.amdhsa_workgroup_processor_mode 1
		.amdhsa_memory_ordered 1
		.amdhsa_forward_progress 1
		.amdhsa_shared_vgpr_count 0
		.amdhsa_exception_fp_ieee_invalid_op 0
		.amdhsa_exception_fp_denorm_src 0
		.amdhsa_exception_fp_ieee_div_zero 0
		.amdhsa_exception_fp_ieee_overflow 0
		.amdhsa_exception_fp_ieee_underflow 0
		.amdhsa_exception_fp_ieee_inexact 0
		.amdhsa_exception_int_div_zero 0
	.end_amdhsa_kernel
	.section	.text._ZL33flash_attn_stream_k_fixup_generalILi128ELi2ELi8EEvPfPK15HIP_vector_typeIfLj2EEiiiiS1_IjLj3EES5_S5_S5_,"axG",@progbits,_ZL33flash_attn_stream_k_fixup_generalILi128ELi2ELi8EEvPfPK15HIP_vector_typeIfLj2EEiiiiS1_IjLj3EES5_S5_S5_,comdat
.Lfunc_end15:
	.size	_ZL33flash_attn_stream_k_fixup_generalILi128ELi2ELi8EEvPfPK15HIP_vector_typeIfLj2EEiiiiS1_IjLj3EES5_S5_S5_, .Lfunc_end15-_ZL33flash_attn_stream_k_fixup_generalILi128ELi2ELi8EEvPfPK15HIP_vector_typeIfLj2EEiiiiS1_IjLj3EES5_S5_S5_
                                        ; -- End function
	.set _ZL33flash_attn_stream_k_fixup_generalILi128ELi2ELi8EEvPfPK15HIP_vector_typeIfLj2EEiiiiS1_IjLj3EES5_S5_S5_.num_vgpr, 17
	.set _ZL33flash_attn_stream_k_fixup_generalILi128ELi2ELi8EEvPfPK15HIP_vector_typeIfLj2EEiiiiS1_IjLj3EES5_S5_S5_.num_agpr, 0
	.set _ZL33flash_attn_stream_k_fixup_generalILi128ELi2ELi8EEvPfPK15HIP_vector_typeIfLj2EEiiiiS1_IjLj3EES5_S5_S5_.numbered_sgpr, 31
	.set _ZL33flash_attn_stream_k_fixup_generalILi128ELi2ELi8EEvPfPK15HIP_vector_typeIfLj2EEiiiiS1_IjLj3EES5_S5_S5_.num_named_barrier, 0
	.set _ZL33flash_attn_stream_k_fixup_generalILi128ELi2ELi8EEvPfPK15HIP_vector_typeIfLj2EEiiiiS1_IjLj3EES5_S5_S5_.private_seg_size, 0
	.set _ZL33flash_attn_stream_k_fixup_generalILi128ELi2ELi8EEvPfPK15HIP_vector_typeIfLj2EEiiiiS1_IjLj3EES5_S5_S5_.uses_vcc, 1
	.set _ZL33flash_attn_stream_k_fixup_generalILi128ELi2ELi8EEvPfPK15HIP_vector_typeIfLj2EEiiiiS1_IjLj3EES5_S5_S5_.uses_flat_scratch, 0
	.set _ZL33flash_attn_stream_k_fixup_generalILi128ELi2ELi8EEvPfPK15HIP_vector_typeIfLj2EEiiiiS1_IjLj3EES5_S5_S5_.has_dyn_sized_stack, 0
	.set _ZL33flash_attn_stream_k_fixup_generalILi128ELi2ELi8EEvPfPK15HIP_vector_typeIfLj2EEiiiiS1_IjLj3EES5_S5_S5_.has_recursion, 0
	.set _ZL33flash_attn_stream_k_fixup_generalILi128ELi2ELi8EEvPfPK15HIP_vector_typeIfLj2EEiiiiS1_IjLj3EES5_S5_S5_.has_indirect_call, 0
	.section	.AMDGPU.csdata,"",@progbits
; Kernel info:
; codeLenInByte = 2944
; TotalNumSgprs: 33
; NumVgprs: 17
; ScratchSize: 0
; MemoryBound: 0
; FloatMode: 240
; IeeeMode: 1
; LDSByteSize: 0 bytes/workgroup (compile time only)
; SGPRBlocks: 0
; VGPRBlocks: 2
; NumSGPRsForWavesPerEU: 33
; NumVGPRsForWavesPerEU: 17
; Occupancy: 16
; WaveLimiterHint : 0
; COMPUTE_PGM_RSRC2:SCRATCH_EN: 0
; COMPUTE_PGM_RSRC2:USER_SGPR: 6
; COMPUTE_PGM_RSRC2:TRAP_HANDLER: 0
; COMPUTE_PGM_RSRC2:TGID_X_EN: 1
; COMPUTE_PGM_RSRC2:TGID_Y_EN: 1
; COMPUTE_PGM_RSRC2:TGID_Z_EN: 1
; COMPUTE_PGM_RSRC2:TIDIG_COMP_CNT: 0
	.section	.text._ZL15flash_attn_tileILi192ELi128ELi1ELi8ELb0EEvPKcS1_S1_S1_S1_PKiPfP15HIP_vector_typeIfLj2EEffffjfiS5_IjLj3EEiiiiiiiiiiiliiliiiiil,"axG",@progbits,_ZL15flash_attn_tileILi192ELi128ELi1ELi8ELb0EEvPKcS1_S1_S1_S1_PKiPfP15HIP_vector_typeIfLj2EEffffjfiS5_IjLj3EEiiiiiiiiiiiliiliiiiil,comdat
	.globl	_ZL15flash_attn_tileILi192ELi128ELi1ELi8ELb0EEvPKcS1_S1_S1_S1_PKiPfP15HIP_vector_typeIfLj2EEffffjfiS5_IjLj3EEiiiiiiiiiiiliiliiiiil ; -- Begin function _ZL15flash_attn_tileILi192ELi128ELi1ELi8ELb0EEvPKcS1_S1_S1_S1_PKiPfP15HIP_vector_typeIfLj2EEffffjfiS5_IjLj3EEiiiiiiiiiiiliiliiiiil
	.p2align	8
	.type	_ZL15flash_attn_tileILi192ELi128ELi1ELi8ELb0EEvPKcS1_S1_S1_S1_PKiPfP15HIP_vector_typeIfLj2EEffffjfiS5_IjLj3EEiiiiiiiiiiiliiliiiiil,@function
_ZL15flash_attn_tileILi192ELi128ELi1ELi8ELb0EEvPKcS1_S1_S1_S1_PKiPfP15HIP_vector_typeIfLj2EEffffjfiS5_IjLj3EEiiiiiiiiiiiliiliiiiil: ; @_ZL15flash_attn_tileILi192ELi128ELi1ELi8ELb0EEvPKcS1_S1_S1_S1_PKiPfP15HIP_vector_typeIfLj2EEffffjfiS5_IjLj3EEiiiiiiiiiiiliiliiiiil
; %bb.0:
	s_clause 0x1
	s_load_dwordx4 s[24:27], s[4:5], 0x5c
	s_load_dwordx2 s[30:31], s[4:5], 0x80
	s_mov_b32 s28, s7
	s_mov_b64 s[34:35], 0
	s_waitcnt lgkmcnt(0)
	s_ashr_i32 s0, s27, 31
	s_lshr_b32 s0, s0, 29
	s_add_i32 s0, s27, s0
	s_ashr_i32 s0, s0, 3
	v_cvt_f32_u32_e32 v2, s0
	s_sub_i32 s2, 0, s0
	v_rcp_iflag_f32_e32 v2, v2
	v_mul_f32_e32 v2, 0x4f7ffffe, v2
	v_cvt_u32_f32_e32 v2, v2
	v_readfirstlane_b32 s1, v2
	s_mul_i32 s2, s2, s1
	s_mul_hi_u32 s2, s1, s2
	s_add_i32 s1, s1, s2
	s_mul_hi_u32 s1, s8, s1
	s_mul_i32 s2, s1, s0
	s_add_i32 s3, s1, 1
	s_sub_i32 s2, s8, s2
	s_sub_i32 s7, s2, s0
	s_cmp_ge_u32 s2, s0
	s_cselect_b32 s1, s3, s1
	s_cselect_b32 s2, s7, s2
	s_add_i32 s3, s1, 1
	s_cmp_ge_u32 s2, s0
	s_cselect_b32 s29, s3, s1
	s_abs_i32 s0, s31
	s_lshl_b32 s3, s8, 3
	v_cvt_f32_u32_e32 v2, s0
	s_sub_i32 s2, 0, s0
	s_abs_i32 s8, s27
	s_mul_i32 s7, s29, s27
	v_rcp_iflag_f32_e32 v2, v2
	s_sub_i32 s33, s3, s7
	v_mul_f32_e32 v2, 0x4f7ffffe, v2
	v_cvt_u32_f32_e32 v2, v2
	v_readfirstlane_b32 s1, v2
	s_mul_i32 s2, s2, s1
	s_mul_hi_u32 s2, s1, s2
	s_add_i32 s1, s1, s2
	s_xor_b32 s2, s27, s31
	s_mul_hi_u32 s1, s8, s1
	s_ashr_i32 s2, s2, 31
	s_mul_i32 s3, s1, s0
	s_add_i32 s7, s1, 1
	s_sub_i32 s3, s8, s3
	s_sub_i32 s8, s3, s0
	s_cmp_ge_u32 s3, s0
	s_cselect_b32 s1, s7, s1
	s_cselect_b32 s3, s8, s3
	s_add_i32 s7, s1, 1
	s_cmp_ge_u32 s3, s0
	s_clause 0x1
	s_load_dwordx16 s[8:23], s[4:5], 0x0
	s_load_dwordx2 s[36:37], s[4:5], 0xb8
	s_cselect_b32 s0, s7, s1
	s_xor_b32 s0, s0, s2
	s_sub_i32 s31, s0, s2
	s_abs_i32 s7, s31
	v_cvt_f32_u32_e32 v2, s7
	v_rcp_iflag_f32_e32 v2, v2
	s_waitcnt lgkmcnt(0)
	s_cmp_eq_u64 s[14:15], 0
	v_mul_f32_e32 v2, 0x4f7ffffe, v2
	v_cvt_u32_f32_e32 v2, v2
	v_readfirstlane_b32 s38, v2
	s_cbranch_scc1 .LBB16_2
; %bb.1:
	s_abs_i32 s2, s36
	s_abs_i32 s3, s29
	v_cvt_f32_u32_e32 v2, s2
	s_sub_i32 s1, 0, s2
	v_rcp_iflag_f32_e32 v2, v2
	v_mul_f32_e32 v2, 0x4f7ffffe, v2
	v_cvt_u32_f32_e32 v2, v2
	v_readfirstlane_b32 s0, v2
	s_mul_i32 s1, s1, s0
	s_mul_hi_u32 s1, s0, s1
	s_add_i32 s0, s0, s1
	s_mul_hi_u32 s34, s3, s0
	s_load_dwordx2 s[0:1], s[4:5], 0xc8
	s_mul_i32 s34, s34, s2
	s_sub_i32 s3, s3, s34
	s_ashr_i32 s34, s29, 31
	s_sub_i32 s35, s3, s2
	s_cmp_ge_u32 s3, s2
	s_cselect_b32 s3, s35, s3
	s_sub_i32 s35, s3, s2
	s_cmp_ge_u32 s3, s2
	s_cselect_b32 s2, s35, s3
	s_xor_b32 s2, s2, s34
	s_sub_i32 s2, s2, s34
	s_ashr_i32 s3, s2, 31
	s_waitcnt lgkmcnt(0)
	s_mul_hi_u32 s34, s0, s2
	s_mul_i32 s3, s0, s3
	s_mul_i32 s1, s1, s2
	s_add_i32 s3, s34, s3
	s_mul_i32 s0, s0, s2
	s_add_i32 s3, s3, s1
	s_add_u32 s34, s14, s0
	s_addc_u32 s35, s15, s3
.LBB16_2:
	v_lshrrev_b32_e32 v2, 2, v1
	s_load_dwordx4 s[40:43], s[4:5], 0x70
	v_lshlrev_b32_e32 v6, 1, v1
	v_lshlrev_b32_e32 v25, 3, v0
	v_add_nc_u32_e32 v5, s6, v2
	v_and_b32_e32 v24, 6, v6
	v_mul_hi_u32 v2, s24, v5
	v_add_nc_u32_e32 v2, v5, v2
	s_waitcnt lgkmcnt(0)
	s_mul_i32 s0, s29, s42
	s_mul_i32 s1, s33, s41
	v_lshrrev_b32_e32 v2, s25, v2
	s_ashr_i32 s3, s0, 31
	s_add_u32 s0, s8, s0
	s_addc_u32 s3, s9, s3
	s_ashr_i32 s8, s1, 31
	v_mul_lo_u32 v2, v2, s26
	s_add_u32 s9, s0, s1
	s_mov_b32 s2, s41
	s_addc_u32 s8, s3, s8
	s_ashr_i32 s3, s41, 31
	s_ashr_i32 s41, s40, 31
	s_lshr_b64 s[0:1], s[40:41], 2
	v_sub_nc_u32_e32 v4, v5, v2
	v_mad_u64_u32 v[2:3], null, s0, v4, 0
	s_lshr_b64 s[0:1], s[2:3], 2
	s_lshr_b32 s2, s41, 2
	v_mad_u64_u32 v[7:8], null, s0, v24, 0
	v_mad_u64_u32 v[9:10], null, s2, v4, v[3:4]
	s_lshr_b32 s2, s3, 2
	v_mov_b32_e32 v3, v9
	v_mad_u64_u32 v[8:9], null, s2, v24, v[8:9]
	v_lshlrev_b32_e32 v9, 4, v0
	s_load_dword s2, s[4:5], 0x40
	v_lshlrev_b64 v[2:3], 2, v[2:3]
	v_add_co_u32 v10, vcc_lo, s9, v2
	v_add_co_ci_u32_e64 v11, null, s8, v3, vcc_lo
	v_lshlrev_b64 v[2:3], 2, v[7:8]
	v_add_co_u32 v9, vcc_lo, v10, v9
	v_add_co_ci_u32_e64 v10, null, 0, v11, vcc_lo
	v_add_co_u32 v2, vcc_lo, v9, v2
	v_add_co_ci_u32_e64 v3, null, v10, v3, vcc_lo
	v_cmp_gt_u32_e32 vcc_lo, 16, v0
	global_load_dwordx4 v[11:14], v[2:3], off
	s_waitcnt vmcnt(0) lgkmcnt(0)
	v_fma_mixlo_f16 v7, s2, v12, 0
	v_fma_mixlo_f16 v8, s2, v11, 0
	;; [unrolled: 1-line block ×4, first 2 shown]
	v_lshlrev_b32_e32 v7, 16, v7
	v_and_b32_e32 v13, 0xffff, v8
	v_add_nc_u32_e32 v8, 0x1200, v25
	v_lshlrev_b32_e32 v12, 16, v12
	v_and_b32_e32 v11, 0xffff, v11
	v_or_b32_e32 v13, v7, v13
	v_mul_u32_u24_e32 v7, 0x300, v1
	v_mad_u32_u24 v14, 0x300, v1, v8
	v_or3_b32 v12, v12, v11, 0
	v_or3_b32 v11, 0, 0, v13
	ds_write_b64 v14, v[11:12]
	s_and_saveexec_b32 s3, vcc_lo
	s_cbranch_execz .LBB16_4
; %bb.3:
	global_load_dwordx4 v[11:14], v[2:3], off offset:512
	s_waitcnt vmcnt(0)
	v_fma_mixlo_f16 v2, s2, v12, 0
	v_fma_mixlo_f16 v3, s2, v11, 0
	;; [unrolled: 1-line block ×4, first 2 shown]
	v_lshlrev_b32_e32 v2, 16, v2
	v_and_b32_e32 v3, 0xffff, v3
	v_and_b32_e32 v11, 0xffff, v11
	v_lshlrev_b32_e32 v12, 16, v12
	v_or_b32_e32 v2, v2, v3
	v_or3_b32 v3, v12, v11, 0
	v_add_nc_u32_e32 v11, v8, v7
	v_or3_b32 v2, 0, 0, v2
	ds_write_b64 v11, v[2:3] offset:256
.LBB16_4:
	s_or_b32 exec_lo, exec_lo, s3
	v_or_b32_e32 v11, 1, v6
	v_and_b32_e32 v12, 7, v11
	v_mad_u64_u32 v[2:3], null, s0, v12, 0
	v_mad_u64_u32 v[12:13], null, s1, v12, v[3:4]
	v_mov_b32_e32 v3, v12
	v_lshlrev_b64 v[2:3], 2, v[2:3]
	v_add_co_u32 v2, s0, v9, v2
	v_add_co_ci_u32_e64 v3, null, v10, v3, s0
	global_load_dwordx4 v[12:15], v[2:3], off
	s_waitcnt vmcnt(0)
	v_fma_mixlo_f16 v9, s2, v13, 0
	v_fma_mixlo_f16 v10, s2, v12, 0
	;; [unrolled: 1-line block ×4, first 2 shown]
	v_mad_u32_u24 v14, 0x180, v11, v8
	v_lshlrev_b32_e32 v9, 16, v9
	v_and_b32_e32 v10, 0xffff, v10
	v_and_b32_e32 v12, 0xffff, v12
	v_lshlrev_b32_e32 v13, 16, v13
	v_or_b32_e32 v9, v9, v10
	v_or3_b32 v10, v13, v12, 0
	v_or3_b32 v9, 0, 0, v9
	ds_write_b64 v14, v[9:10]
	s_and_saveexec_b32 s0, vcc_lo
	s_cbranch_execz .LBB16_6
; %bb.5:
	global_load_dwordx4 v[12:15], v[2:3], off offset:512
	v_mul_u32_u24_e32 v11, 0x180, v11
	v_add_nc_u32_e32 v8, v8, v11
	s_waitcnt vmcnt(0)
	v_fma_mixlo_f16 v2, s2, v13, 0
	v_fma_mixlo_f16 v3, s2, v12, 0
	;; [unrolled: 1-line block ×4, first 2 shown]
	v_lshlrev_b32_e32 v2, 16, v2
	v_and_b32_e32 v3, 0xffff, v3
	v_and_b32_e32 v9, 0xffff, v9
	v_lshlrev_b32_e32 v10, 16, v10
	v_or_b32_e32 v2, v2, v3
	v_or3_b32 v3, v10, v9, 0
	v_or3_b32 v2, 0, 0, v2
	ds_write_b64 v8, v[2:3] offset:256
.LBB16_6:
	s_or_b32 exec_lo, exec_lo, s0
	s_cmp_eq_u64 s[18:19], 0
	s_waitcnt lgkmcnt(0)
	s_barrier
	buffer_gl0_inv
	s_cbranch_scc1 .LBB16_8
; %bb.7:
	s_load_dword s0, s[4:5], 0xd0
	s_mov_b32 s1, 0
	s_waitcnt lgkmcnt(0)
	s_mul_i32 s0, s0, s29
	s_add_i32 s0, s0, s6
	s_lshl_b64 s[0:1], s[0:1], 2
	s_add_u32 s0, s18, s0
	s_addc_u32 s1, s19, s1
	s_load_dword s30, s[0:1], 0x0
.LBB16_8:
	v_mbcnt_lo_u32_b32 v27, -1, 0
	s_lshl_b32 s14, s28, 5
	s_waitcnt lgkmcnt(0)
	s_cmp_lt_i32 s14, s30
	s_cbranch_scc1 .LBB16_11
; %bb.9:
	v_mbcnt_lo_u32_b32 v2, -1, 0
	v_mov_b32_e32 v30, 32
	v_xor_b32_e32 v36, 16, v2
	v_xor_b32_e32 v35, 8, v2
	;; [unrolled: 1-line block ×5, first 2 shown]
	v_lshlrev_b32_e32 v23, 2, v0
	s_cbranch_execz .LBB16_12
; %bb.10:
	v_mov_b32_e32 v29, 0
	v_mov_b32_e32 v37, 0
	;; [unrolled: 1-line block ×8, first 2 shown]
	s_branch .LBB16_15
.LBB16_11:
                                        ; implicit-def: $vgpr2
                                        ; implicit-def: $vgpr30
                                        ; implicit-def: $vgpr36
                                        ; implicit-def: $vgpr35
                                        ; implicit-def: $vgpr34
                                        ; implicit-def: $vgpr33
                                        ; implicit-def: $vgpr32
	v_lshlrev_b32_e32 v23, 2, v0
.LBB16_12:
	s_clause 0x1
	s_load_dwordx4 s[0:3], s[4:5], 0x98
	s_load_dwordx2 s[8:9], s[4:5], 0x8c
	s_sub_i32 s6, 0, s7
	s_abs_i32 s19, s33
	s_mul_i32 s6, s6, s38
	v_lshrrev_b32_e32 v2, 3, v0
	s_mul_hi_u32 s6, s38, s6
	v_lshrrev_b32_e32 v8, 4, v0
	s_add_i32 s38, s38, s6
	s_ashr_i32 s6, s37, 1
	s_mul_hi_u32 s37, s19, s38
	s_ashr_i32 s38, s29, 31
	s_ashr_i32 s36, s33, 31
	;; [unrolled: 1-line block ×3, first 2 shown]
	s_load_dwordx2 s[24:25], s[4:5], 0xa8
	s_mul_i32 s39, s37, s7
	v_lshl_add_u32 v3, v1, 2, v2
	v_add_nc_u32_e32 v6, v8, v6
	v_and_b32_e32 v16, 28, v23
	v_and_b32_e32 v17, 60, v23
	s_waitcnt lgkmcnt(0)
	s_ashr_i32 s15, s2, 2
	s_ashr_i32 s18, s8, 2
	s_mul_hi_u32 s2, s0, s29
	s_mul_i32 s8, s0, s38
	s_mul_i32 s1, s1, s29
	s_add_i32 s2, s2, s8
	s_mul_i32 s0, s0, s29
	s_add_i32 s2, s2, s1
	s_add_u32 s0, s10, s0
	s_addc_u32 s1, s11, s2
	s_sub_i32 s8, s19, s39
	s_xor_b32 s2, s36, s31
	s_add_i32 s10, s37, 1
	s_sub_i32 s11, s8, s7
	s_cmp_ge_u32 s8, s7
	v_mul_lo_u32 v2, s18, v3
	s_cselect_b32 s10, s10, s37
	s_cselect_b32 s8, s11, s8
	v_mul_lo_u32 v11, s15, v6
	s_add_i32 s11, s10, 1
	s_cmp_ge_u32 s8, s7
	v_lshlrev_b32_e32 v9, 2, v16
	s_cselect_b32 s7, s11, s10
	v_lshlrev_b32_e32 v8, 2, v17
	s_xor_b32 s7, s7, s2
	s_mul_hi_u32 s8, s24, s29
	s_sub_i32 s2, s7, s2
	v_mad_u32_u24 v38, 0x90, v3, v9
	v_lshl_add_u32 v9, s18, 4, v2
	v_lshl_add_u32 v13, s15, 3, v11
	s_mul_i32 s9, s2, s9
	s_mul_i32 s7, s24, s38
	s_ashr_i32 s11, s9, 31
	s_add_u32 s10, s0, s9
	v_ashrrev_i32_e32 v3, 31, v2
	v_ashrrev_i32_e32 v10, 31, v9
	;; [unrolled: 1-line block ×4, first 2 shown]
	s_mul_i32 s19, s25, s29
	s_addc_u32 s11, s1, s11
	s_add_i32 s0, s8, s7
	v_lshl_or_b32 v42, v6, 8, v8
	v_lshl_add_u32 v43, v1, 7, 0x1e00
	s_mul_i32 s1, s24, s29
	s_add_i32 s0, s0, s19
	s_mul_i32 s2, s2, s3
	v_add_nc_u32_e32 v41, 0x1200, v7
	v_mad_u64_u32 v[6:7], null, v4, s6, v[0:1]
	s_add_u32 s1, s12, s1
	s_addc_u32 s0, s13, s0
	s_ashr_i32 s3, s2, 31
	v_lshlrev_b64 v[7:8], 2, v[2:3]
	v_lshlrev_b64 v[9:10], 2, v[9:10]
	;; [unrolled: 1-line block ×4, first 2 shown]
	s_add_u32 s12, s1, s2
	v_mov_b32_e32 v26, 0
	v_add_nc_u32_e32 v39, 0x900, v38
	v_mul_u32_u24_e32 v40, 0x90, v0
	v_add_nc_u32_e32 v44, 0x800, v42
	v_mov_b32_e32 v15, 0xfeffffff
	v_lshlrev_b32_e32 v45, 2, v16
	v_mov_b32_e32 v30, 32
	v_xor_b32_e32 v36, 16, v27
	v_xor_b32_e32 v35, 8, v27
	;; [unrolled: 1-line block ×5, first 2 shown]
	v_add_nc_u32_e32 v46, v43, v23
	v_lshlrev_b32_e32 v47, 2, v17
	v_mov_b32_e32 v48, 0x10001
	v_add_nc_u32_e32 v49, 0x800, v25
	v_mov_b32_e32 v28, 0
	v_mov_b32_e32 v31, 0
	;; [unrolled: 1-line block ×6, first 2 shown]
	s_addc_u32 s13, s0, s3
	s_add_u32 s6, s4, 0xd0
	s_addc_u32 s7, s5, 0
.LBB16_13:                              ; =>This Inner Loop Header: Depth=1
	v_cmp_gt_i32_e64 s0, 32, v36
	s_mul_hi_i32 s3, s14, s18
	s_mul_i32 s2, s14, s18
	v_mov_b32_e32 v53, v16
	v_mov_b32_e32 v54, v15
	v_cndmask_b32_e64 v3, v27, v36, s0
	v_cmp_gt_i32_e64 s0, 32, v35
	v_mov_b32_e32 v51, 0
	v_mov_b32_e32 v52, 0
	v_add_nc_u32_e32 v1, s14, v6
	v_cmp_gt_i32_e32 vcc_lo, 32, v33
	v_cndmask_b32_e64 v4, v27, v35, s0
	v_cmp_gt_i32_e64 s0, 32, v34
	s_mul_hi_i32 s9, s14, s15
	s_mul_i32 s8, s14, s15
	v_cndmask_b32_e32 v65, v27, v33, vcc_lo
	v_cmp_gt_i32_e32 vcc_lo, 32, v32
	v_cndmask_b32_e64 v16, v27, v34, s0
	s_lshl_b64 s[0:1], s[2:3], 2
	s_add_u32 s2, s10, s0
	s_addc_u32 s3, s11, s1
	v_add_co_u32 v15, s1, s2, v7
	v_add_co_u32 v2, s0, s2, v9
	v_add_co_ci_u32_e64 v17, null, s3, v8, s1
	v_add_co_ci_u32_e64 v18, null, s3, v10, s0
	v_add_co_u32 v63, s1, v15, v45
	v_add_co_u32 v21, s0, v2, v45
	v_add_co_ci_u32_e64 v64, null, 0, v17, s1
	v_add_co_ci_u32_e64 v22, null, 0, v18, s0
	s_clause 0x1
	global_load_dwordx4 v[17:20], v[63:64], off
	global_load_dwordx4 v[55:58], v[21:22], off
	v_ashrrev_i32_e32 v2, 31, v1
	s_lshl_b64 s[0:1], s[8:9], 2
	v_cndmask_b32_e32 v66, v27, v32, vcc_lo
	s_add_u32 s0, s12, s0
	s_addc_u32 s1, s13, s1
	v_lshlrev_b64 v[1:2], 1, v[1:2]
	v_add_co_u32 v67, vcc_lo, s0, v11
	v_max_f32_e32 v15, v54, v54
	s_waitcnt vmcnt(1)
	ds_write_b128 v38, v[17:20]
	s_waitcnt vmcnt(0)
	ds_write_b128 v39, v[55:58]
	s_waitcnt lgkmcnt(0)
	s_barrier
	buffer_gl0_inv
	ds_read_b128 v[17:20], v40
	ds_read_b128 v[55:58], v41
	ds_read_b128 v[59:62], v41 offset:384
	s_waitcnt lgkmcnt(1)
	;;#ASMSTART
	v_dot2_f32_f16 v51, v17, v55, v51
	;;#ASMEND
	;;#ASMSTART
	v_dot2_f32_f16 v51, v18, v56, v51
	;;#ASMEND
	;;#ASMSTART
	v_dot2_f32_f16 v51, v19, v57, v51
	;;#ASMEND
	;;#ASMSTART
	v_dot2_f32_f16 v51, v20, v58, v51
	;;#ASMEND
	s_waitcnt lgkmcnt(0)
	;;#ASMSTART
	v_dot2_f32_f16 v52, v17, v59, v52
	;;#ASMEND
	;;#ASMSTART
	v_dot2_f32_f16 v52, v18, v60, v52
	;;#ASMEND
	;;#ASMSTART
	v_dot2_f32_f16 v52, v19, v61, v52
	;;#ASMEND
	;;#ASMSTART
	v_dot2_f32_f16 v52, v20, v62, v52
	;;#ASMEND
	ds_read_b128 v[17:20], v40 offset:16
	ds_read_b128 v[55:58], v41 offset:16
	ds_read_b128 v[59:62], v41 offset:400
	s_waitcnt lgkmcnt(1)
	;;#ASMSTART
	v_dot2_f32_f16 v51, v17, v55, v51
	;;#ASMEND
	;;#ASMSTART
	v_dot2_f32_f16 v51, v18, v56, v51
	;;#ASMEND
	;;#ASMSTART
	v_dot2_f32_f16 v51, v19, v57, v51
	;;#ASMEND
	;;#ASMSTART
	v_dot2_f32_f16 v51, v20, v58, v51
	;;#ASMEND
	s_waitcnt lgkmcnt(0)
	;;#ASMSTART
	v_dot2_f32_f16 v52, v17, v59, v52
	;;#ASMEND
	;;#ASMSTART
	v_dot2_f32_f16 v52, v18, v60, v52
	;;#ASMEND
	;;#ASMSTART
	v_dot2_f32_f16 v52, v19, v61, v52
	;;#ASMEND
	;;#ASMSTART
	v_dot2_f32_f16 v52, v20, v62, v52
	;;#ASMEND
	ds_read_b128 v[17:20], v40 offset:32
	ds_read_b128 v[55:58], v41 offset:32
	;; [unrolled: 29-line block ×7, first 2 shown]
	ds_read_b128 v[59:62], v41 offset:496
	s_waitcnt lgkmcnt(1)
	;;#ASMSTART
	v_dot2_f32_f16 v51, v17, v55, v51
	;;#ASMEND
	;;#ASMSTART
	v_dot2_f32_f16 v51, v18, v56, v51
	;;#ASMEND
	;; [unrolled: 3-line block ×4, first 2 shown]
	s_waitcnt lgkmcnt(0)
	;;#ASMSTART
	v_dot2_f32_f16 v52, v17, v59, v52
	;;#ASMEND
	;;#ASMSTART
	v_dot2_f32_f16 v52, v18, v60, v52
	;;#ASMEND
	;; [unrolled: 3-line block ×4, first 2 shown]
	s_barrier
	buffer_gl0_inv
	s_clause 0x1
	global_load_dwordx4 v[17:20], v[63:64], off offset:128
	global_load_dwordx4 v[55:58], v[21:22], off offset:128
	s_waitcnt vmcnt(1)
	ds_write_b128 v38, v[17:20]
	s_waitcnt vmcnt(0)
	ds_write_b128 v39, v[55:58]
	s_waitcnt lgkmcnt(0)
	s_barrier
	buffer_gl0_inv
	ds_read_b128 v[17:20], v40
	ds_read_b128 v[55:58], v41 offset:128
	ds_read_b128 v[59:62], v41 offset:512
	s_waitcnt lgkmcnt(1)
	;;#ASMSTART
	v_dot2_f32_f16 v51, v17, v55, v51
	;;#ASMEND
	;;#ASMSTART
	v_dot2_f32_f16 v51, v18, v56, v51
	;;#ASMEND
	;;#ASMSTART
	v_dot2_f32_f16 v51, v19, v57, v51
	;;#ASMEND
	;;#ASMSTART
	v_dot2_f32_f16 v51, v20, v58, v51
	;;#ASMEND
	s_waitcnt lgkmcnt(0)
	;;#ASMSTART
	v_dot2_f32_f16 v52, v17, v59, v52
	;;#ASMEND
	;;#ASMSTART
	v_dot2_f32_f16 v52, v18, v60, v52
	;;#ASMEND
	;;#ASMSTART
	v_dot2_f32_f16 v52, v19, v61, v52
	;;#ASMEND
	;;#ASMSTART
	v_dot2_f32_f16 v52, v20, v62, v52
	;;#ASMEND
	ds_read_b128 v[17:20], v40 offset:16
	ds_read_b128 v[55:58], v41 offset:144
	ds_read_b128 v[59:62], v41 offset:528
	s_waitcnt lgkmcnt(1)
	;;#ASMSTART
	v_dot2_f32_f16 v51, v17, v55, v51
	;;#ASMEND
	;;#ASMSTART
	v_dot2_f32_f16 v51, v18, v56, v51
	;;#ASMEND
	;;#ASMSTART
	v_dot2_f32_f16 v51, v19, v57, v51
	;;#ASMEND
	;;#ASMSTART
	v_dot2_f32_f16 v51, v20, v58, v51
	;;#ASMEND
	s_waitcnt lgkmcnt(0)
	;;#ASMSTART
	v_dot2_f32_f16 v52, v17, v59, v52
	;;#ASMEND
	;;#ASMSTART
	v_dot2_f32_f16 v52, v18, v60, v52
	;;#ASMEND
	;;#ASMSTART
	v_dot2_f32_f16 v52, v19, v61, v52
	;;#ASMEND
	;;#ASMSTART
	v_dot2_f32_f16 v52, v20, v62, v52
	;;#ASMEND
	ds_read_b128 v[17:20], v40 offset:32
	;; [unrolled: 29-line block ×7, first 2 shown]
	ds_read_b128 v[55:58], v41 offset:240
	ds_read_b128 v[59:62], v41 offset:624
	s_waitcnt lgkmcnt(1)
	;;#ASMSTART
	v_dot2_f32_f16 v51, v17, v55, v51
	;;#ASMEND
	;;#ASMSTART
	v_dot2_f32_f16 v51, v18, v56, v51
	;;#ASMEND
	;; [unrolled: 3-line block ×4, first 2 shown]
	s_waitcnt lgkmcnt(0)
	;;#ASMSTART
	v_dot2_f32_f16 v52, v17, v59, v52
	;;#ASMEND
	;;#ASMSTART
	v_dot2_f32_f16 v52, v18, v60, v52
	;;#ASMEND
	;; [unrolled: 3-line block ×4, first 2 shown]
	s_barrier
	buffer_gl0_inv
	s_clause 0x1
	global_load_dwordx4 v[17:20], v[63:64], off offset:256
	global_load_dwordx4 v[55:58], v[21:22], off offset:256
	v_add_co_u32 v21, s0, s0, v13
	v_add_co_ci_u32_e64 v22, null, s1, v12, vcc_lo
	v_add_co_u32 v1, vcc_lo, s34, v1
	v_add_co_ci_u32_e64 v2, null, s35, v2, vcc_lo
	v_lshlrev_b32_e32 v64, 2, v3
	v_max_f32_e32 v63, v53, v53
	s_waitcnt vmcnt(1)
	ds_write_b128 v38, v[17:20]
	s_waitcnt vmcnt(0)
	ds_write_b128 v39, v[55:58]
	s_waitcnt lgkmcnt(0)
	s_barrier
	buffer_gl0_inv
	ds_read_b128 v[17:20], v40
	ds_read_b128 v[55:58], v41 offset:256
	ds_read_b128 v[59:62], v41 offset:640
	s_waitcnt lgkmcnt(1)
	;;#ASMSTART
	v_dot2_f32_f16 v51, v17, v55, v51
	;;#ASMEND
	;;#ASMSTART
	v_dot2_f32_f16 v51, v18, v56, v51
	;;#ASMEND
	;;#ASMSTART
	v_dot2_f32_f16 v51, v19, v57, v51
	;;#ASMEND
	;;#ASMSTART
	v_dot2_f32_f16 v51, v20, v58, v51
	;;#ASMEND
	s_waitcnt lgkmcnt(0)
	;;#ASMSTART
	v_dot2_f32_f16 v52, v17, v59, v52
	;;#ASMEND
	;;#ASMSTART
	v_dot2_f32_f16 v52, v18, v60, v52
	;;#ASMEND
	;;#ASMSTART
	v_dot2_f32_f16 v52, v19, v61, v52
	;;#ASMEND
	;;#ASMSTART
	v_dot2_f32_f16 v52, v20, v62, v52
	;;#ASMEND
	ds_read_b128 v[17:20], v40 offset:16
	ds_read_b128 v[55:58], v41 offset:272
	ds_read_b128 v[59:62], v41 offset:656
	s_waitcnt lgkmcnt(1)
	;;#ASMSTART
	v_dot2_f32_f16 v51, v17, v55, v51
	;;#ASMEND
	;;#ASMSTART
	v_dot2_f32_f16 v51, v18, v56, v51
	;;#ASMEND
	;;#ASMSTART
	v_dot2_f32_f16 v51, v19, v57, v51
	;;#ASMEND
	;;#ASMSTART
	v_dot2_f32_f16 v51, v20, v58, v51
	;;#ASMEND
	s_waitcnt lgkmcnt(0)
	;;#ASMSTART
	v_dot2_f32_f16 v52, v17, v59, v52
	;;#ASMEND
	;;#ASMSTART
	v_dot2_f32_f16 v52, v18, v60, v52
	;;#ASMEND
	;;#ASMSTART
	v_dot2_f32_f16 v52, v19, v61, v52
	;;#ASMEND
	;;#ASMSTART
	v_dot2_f32_f16 v52, v20, v62, v52
	;;#ASMEND
	ds_read_b128 v[17:20], v40 offset:32
	ds_read_b128 v[55:58], v41 offset:288
	ds_read_b128 v[59:62], v41 offset:672
	s_waitcnt lgkmcnt(1)
	;;#ASMSTART
	v_dot2_f32_f16 v51, v17, v55, v51
	;;#ASMEND
	;;#ASMSTART
	v_dot2_f32_f16 v51, v18, v56, v51
	;;#ASMEND
	;;#ASMSTART
	v_dot2_f32_f16 v51, v19, v57, v51
	;;#ASMEND
	;;#ASMSTART
	v_dot2_f32_f16 v51, v20, v58, v51
	;;#ASMEND
	s_waitcnt lgkmcnt(0)
	;;#ASMSTART
	v_dot2_f32_f16 v52, v17, v59, v52
	;;#ASMEND
	;;#ASMSTART
	v_dot2_f32_f16 v52, v18, v60, v52
	;;#ASMEND
	;;#ASMSTART
	v_dot2_f32_f16 v52, v19, v61, v52
	;;#ASMEND
	;;#ASMSTART
	v_dot2_f32_f16 v52, v20, v62, v52
	;;#ASMEND
	ds_read_b128 v[17:20], v40 offset:48
	ds_read_b128 v[55:58], v41 offset:304
	ds_read_b128 v[59:62], v41 offset:688
	s_waitcnt lgkmcnt(1)
	;;#ASMSTART
	v_dot2_f32_f16 v51, v17, v55, v51
	;;#ASMEND
	;;#ASMSTART
	v_dot2_f32_f16 v51, v18, v56, v51
	;;#ASMEND
	;;#ASMSTART
	v_dot2_f32_f16 v51, v19, v57, v51
	;;#ASMEND
	;;#ASMSTART
	v_dot2_f32_f16 v51, v20, v58, v51
	;;#ASMEND
	s_waitcnt lgkmcnt(0)
	;;#ASMSTART
	v_dot2_f32_f16 v52, v17, v59, v52
	;;#ASMEND
	;;#ASMSTART
	v_dot2_f32_f16 v52, v18, v60, v52
	;;#ASMEND
	;;#ASMSTART
	v_dot2_f32_f16 v52, v19, v61, v52
	;;#ASMEND
	;;#ASMSTART
	v_dot2_f32_f16 v52, v20, v62, v52
	;;#ASMEND
	ds_read_b128 v[17:20], v40 offset:64
	ds_read_b128 v[55:58], v41 offset:320
	ds_read_b128 v[59:62], v41 offset:704
	s_waitcnt lgkmcnt(1)
	;;#ASMSTART
	v_dot2_f32_f16 v51, v17, v55, v51
	;;#ASMEND
	;;#ASMSTART
	v_dot2_f32_f16 v51, v18, v56, v51
	;;#ASMEND
	;;#ASMSTART
	v_dot2_f32_f16 v51, v19, v57, v51
	;;#ASMEND
	;;#ASMSTART
	v_dot2_f32_f16 v51, v20, v58, v51
	;;#ASMEND
	s_waitcnt lgkmcnt(0)
	;;#ASMSTART
	v_dot2_f32_f16 v52, v17, v59, v52
	;;#ASMEND
	;;#ASMSTART
	v_dot2_f32_f16 v52, v18, v60, v52
	;;#ASMEND
	;;#ASMSTART
	v_dot2_f32_f16 v52, v19, v61, v52
	;;#ASMEND
	;;#ASMSTART
	v_dot2_f32_f16 v52, v20, v62, v52
	;;#ASMEND
	ds_read_b128 v[17:20], v40 offset:80
	ds_read_b128 v[55:58], v41 offset:336
	ds_read_b128 v[59:62], v41 offset:720
	s_waitcnt lgkmcnt(1)
	;;#ASMSTART
	v_dot2_f32_f16 v51, v17, v55, v51
	;;#ASMEND
	;;#ASMSTART
	v_dot2_f32_f16 v51, v18, v56, v51
	;;#ASMEND
	;;#ASMSTART
	v_dot2_f32_f16 v51, v19, v57, v51
	;;#ASMEND
	;;#ASMSTART
	v_dot2_f32_f16 v51, v20, v58, v51
	;;#ASMEND
	s_waitcnt lgkmcnt(0)
	;;#ASMSTART
	v_dot2_f32_f16 v52, v17, v59, v52
	;;#ASMEND
	;;#ASMSTART
	v_dot2_f32_f16 v52, v18, v60, v52
	;;#ASMEND
	;;#ASMSTART
	v_dot2_f32_f16 v52, v19, v61, v52
	;;#ASMEND
	;;#ASMSTART
	v_dot2_f32_f16 v52, v20, v62, v52
	;;#ASMEND
	ds_read_b128 v[17:20], v40 offset:96
	ds_read_b128 v[55:58], v41 offset:352
	ds_read_b128 v[59:62], v41 offset:736
	s_waitcnt lgkmcnt(1)
	;;#ASMSTART
	v_dot2_f32_f16 v51, v17, v55, v51
	;;#ASMEND
	;;#ASMSTART
	v_dot2_f32_f16 v51, v18, v56, v51
	;;#ASMEND
	;;#ASMSTART
	v_dot2_f32_f16 v51, v19, v57, v51
	;;#ASMEND
	;;#ASMSTART
	v_dot2_f32_f16 v51, v20, v58, v51
	;;#ASMEND
	s_waitcnt lgkmcnt(0)
	;;#ASMSTART
	v_dot2_f32_f16 v52, v17, v59, v52
	;;#ASMEND
	;;#ASMSTART
	v_dot2_f32_f16 v52, v18, v60, v52
	;;#ASMEND
	;;#ASMSTART
	v_dot2_f32_f16 v52, v19, v61, v52
	;;#ASMEND
	;;#ASMSTART
	v_dot2_f32_f16 v52, v20, v62, v52
	;;#ASMEND
	ds_read_b128 v[17:20], v40 offset:112
	ds_read_b128 v[55:58], v41 offset:368
	ds_read_b128 v[59:62], v41 offset:752
	s_waitcnt lgkmcnt(1)
	;;#ASMSTART
	v_dot2_f32_f16 v51, v17, v55, v51
	;;#ASMEND
	v_add_co_ci_u32_e64 v55, null, s1, v14, s0
	s_or_b32 s0, s14, 16
	;;#ASMSTART
	v_dot2_f32_f16 v51, v18, v56, v51
	;;#ASMEND
	s_mul_hi_i32 s1, s0, s15
	s_mul_i32 s0, s0, s15
	;;#ASMSTART
	v_dot2_f32_f16 v51, v19, v57, v51
	;;#ASMEND
	v_add_co_u32 v57, vcc_lo, v67, v47
	s_lshl_b64 s[0:1], s[0:1], 2
	;;#ASMSTART
	v_dot2_f32_f16 v51, v20, v58, v51
	;;#ASMEND
	v_add_co_ci_u32_e64 v58, null, 0, v22, vcc_lo
	v_add_co_u32 v21, vcc_lo, v21, v47
	s_add_u32 s0, s12, s0
	v_add_co_ci_u32_e64 v22, null, 0, v55, vcc_lo
	v_lshlrev_b32_e32 v67, 2, v4
	s_addc_u32 s1, s13, s1
	v_add_co_u32 v3, vcc_lo, s0, v13
	v_add_co_u32 v4, s0, s0, v11
	s_waitcnt lgkmcnt(0)
	;;#ASMSTART
	v_dot2_f32_f16 v52, v17, v59, v52
	;;#ASMEND
	;;#ASMSTART
	v_dot2_f32_f16 v52, v18, v60, v52
	;;#ASMEND
	v_add_co_ci_u32_e64 v18, null, s1, v12, s0
	v_add_co_ci_u32_e64 v59, null, s1, v14, vcc_lo
	;;#ASMSTART
	v_dot2_f32_f16 v52, v19, v61, v52
	;;#ASMEND
	v_add_co_u32 v17, vcc_lo, v3, v47
	v_add_co_u32 v19, s0, v4, v47
	;;#ASMSTART
	v_dot2_f32_f16 v52, v20, v62, v52
	;;#ASMEND
	v_add_co_ci_u32_e64 v20, null, 0, v18, s0
	v_add_co_ci_u32_e64 v18, null, 0, v59, vcc_lo
	global_load_ushort v59, v[1:2], off
	s_waitcnt vmcnt(0)
	s_barrier
	buffer_gl0_inv
	global_load_dwordx4 v[1:4], v[57:58], off
	v_lshlrev_b32_e32 v56, 2, v16
	v_lshlrev_b32_e32 v55, 2, v65
	;; [unrolled: 1-line block ×3, first 2 shown]
	v_cvt_f32_f16_e32 v57, v59
	v_add_f32_e32 v51, v51, v57
	v_add_f32_e32 v57, v52, v57
	v_add_f32_e32 v52, 0x40051340, v51
	v_add_f32_e32 v58, 0x40051340, v57
	v_max_f32_e32 v15, v15, v52
	v_max_f32_e32 v52, v63, v58
	ds_bpermute_b32 v58, v64, v15
	ds_bpermute_b32 v59, v64, v52
	s_waitcnt lgkmcnt(1)
	v_max_f32_e32 v58, v58, v58
	s_waitcnt lgkmcnt(0)
	v_max_f32_e32 v59, v59, v59
	v_max_f32_e32 v15, v15, v58
	v_max_f32_e32 v52, v52, v59
	ds_bpermute_b32 v58, v67, v15
	ds_bpermute_b32 v59, v67, v52
	s_waitcnt lgkmcnt(1)
	v_max_f32_e32 v58, v58, v58
	s_waitcnt lgkmcnt(0)
	v_max_f32_e32 v59, v59, v59
	;; [unrolled: 8-line block ×5, first 2 shown]
	v_max_f32_e32 v15, v15, v55
	v_max_f32_e32 v16, v52, v16
	v_sub_f32_e32 v58, v54, v15
	v_sub_f32_e32 v51, v51, v15
	;; [unrolled: 1-line block ×4, first 2 shown]
	v_mul_f32_e32 v54, 0x3fb8aa3b, v58
	v_mul_f32_e32 v55, 0x3fb8aa3b, v51
	;; [unrolled: 1-line block ×4, first 2 shown]
	v_cmp_ngt_f32_e32 vcc_lo, 0xc2ce8ed0, v51
	v_fma_f32 v59, 0x3fb8aa3b, v58, -v54
	v_rndne_f32_e32 v60, v54
	v_fma_f32 v61, 0x3fb8aa3b, v51, -v55
	v_rndne_f32_e32 v63, v55
	v_fma_f32 v62, 0x3fb8aa3b, v52, -v56
	v_fmac_f32_e32 v59, 0x32a5705f, v58
	v_sub_f32_e32 v54, v54, v60
	v_rndne_f32_e32 v64, v56
	v_fmac_f32_e32 v61, 0x32a5705f, v51
	v_fmac_f32_e32 v62, 0x32a5705f, v52
	v_cmp_ngt_f32_e64 s0, 0xc2ce8ed0, v52
	v_add_f32_e32 v59, v54, v59
	v_sub_f32_e32 v54, v55, v63
	v_sub_f32_e32 v56, v56, v64
	v_fma_f32 v55, 0x3fb8aa3b, v53, -v57
	v_cmp_ngt_f32_e64 s1, 0xc2ce8ed0, v53
	v_exp_f32_e32 v59, v59
	v_add_f32_e32 v54, v54, v61
	v_add_f32_e32 v61, v56, v62
	v_rndne_f32_e32 v62, v57
	v_fmac_f32_e32 v55, 0x32a5705f, v53
	v_cmp_ngt_f32_e64 s2, 0xc2ce8ed0, v58
	v_exp_f32_e32 v54, v54
	v_exp_f32_e32 v61, v61
	v_sub_f32_e32 v56, v57, v62
	v_cvt_i32_f32_e32 v57, v63
	v_add_f32_e32 v63, v56, v55
	v_ldexp_f32 v65, v54, v57
	global_load_dwordx4 v[54:57], v[21:22], off
	v_mov_b32_e32 v22, v37
	v_cvt_i32_f32_e32 v37, v60
	v_cvt_i32_f32_e32 v60, v62
	v_exp_f32_e32 v62, v63
	v_mov_b32_e32 v21, v50
	v_cvt_i32_f32_e32 v50, v64
	v_ldexp_f32 v37, v59, v37
	v_ldexp_f32 v50, v61, v50
	v_cndmask_b32_e64 v37, 0, v37, s2
	v_cmp_nlt_f32_e64 s2, 0x42b17218, v58
	v_ldexp_f32 v59, v62, v60
	v_cndmask_b32_e32 v58, 0, v65, vcc_lo
	v_cndmask_b32_e64 v60, 0, v50, s0
	v_cmp_nlt_f32_e64 s0, 0x42b17218, v53
	v_cmp_nlt_f32_e32 vcc_lo, 0x42b17218, v52
	v_cndmask_b32_e64 v59, 0, v59, s1
	v_cmp_nlt_f32_e64 s1, 0x42b17218, v51
	v_cndmask_b32_e64 v37, 0x7f800000, v37, s2
	v_cndmask_b32_e32 v52, 0x7f800000, v60, vcc_lo
	v_cndmask_b32_e64 v51, 0x7f800000, v59, s0
	v_cndmask_b32_e64 v50, 0x7f800000, v58, s1
	v_cvt_f16_f32_e32 v59, v37
	v_cvt_f16_f32_e32 v60, v52
	;; [unrolled: 1-line block ×4, first 2 shown]
	v_fmac_f32_e32 v50, v21, v37
	v_mov_b32_e32 v37, v51
	v_mul_u32_u24_sdwa v59, v59, v48 dst_sel:DWORD dst_unused:UNUSED_PAD src0_sel:WORD_0 src1_sel:DWORD
	v_mul_u32_u24_sdwa v63, v60, v48 dst_sel:DWORD dst_unused:UNUSED_PAD src0_sel:WORD_0 src1_sel:DWORD
	v_pack_b32_f16 v21, v53, v58
	ds_write_b32 v46, v21
	s_waitcnt vmcnt(1)
	ds_write_b128 v42, v[1:4]
	s_waitcnt vmcnt(0)
	ds_write_b128 v44, v[54:57]
	v_fmac_f32_e32 v37, v22, v52
	s_waitcnt lgkmcnt(0)
	s_barrier
	buffer_gl0_inv
	ds_read_b128 v[1:4], v43
	ds_read2_b64 v[51:54], v25 offset1:32
	v_pk_mul_f16 v21, v31, v59
	v_pk_mul_f16 v26, v26, v63
	ds_read_b128 v[55:58], v43 offset:16
	s_waitcnt lgkmcnt(2)
	v_mul_u32_u24_sdwa v22, v1, v48 dst_sel:DWORD dst_unused:UNUSED_PAD src0_sel:WORD_0 src1_sel:DWORD
	v_mul_u32_u24_sdwa v1, v1, v48 dst_sel:DWORD dst_unused:UNUSED_PAD src0_sel:WORD_1 src1_sel:DWORD
	s_waitcnt lgkmcnt(1)
	v_pk_mul_f16 v31, v51, v22
	v_pk_mul_f16 v51, v51, v1
	v_pk_fma_f16 v21, v52, v22, v21
	v_pk_fma_f16 v1, v52, v1, v26
	;; [unrolled: 1-line block ×3, first 2 shown]
	ds_read2_b64 v[59:62], v25 offset0:64 offset1:96
	v_pk_fma_f16 v28, v28, v63, v51
	v_mul_u32_u24_sdwa v31, v2, v48 dst_sel:DWORD dst_unused:UNUSED_PAD src0_sel:WORD_0 src1_sel:DWORD
	v_mul_u32_u24_sdwa v2, v2, v48 dst_sel:DWORD dst_unused:UNUSED_PAD src0_sel:WORD_1 src1_sel:DWORD
	v_pk_fma_f16 v21, v54, v31, v21
	v_pk_fma_f16 v22, v54, v2, v1
	;; [unrolled: 1-line block ×4, first 2 shown]
	ds_read2_b64 v[51:54], v25 offset0:128 offset1:160
	v_mul_u32_u24_sdwa v2, v3, v48 dst_sel:DWORD dst_unused:UNUSED_PAD src0_sel:WORD_0 src1_sel:DWORD
	v_mul_u32_u24_sdwa v28, v3, v48 dst_sel:DWORD dst_unused:UNUSED_PAD src0_sel:WORD_1 src1_sel:DWORD
	v_mul_u32_u24_sdwa v29, v4, v48 dst_sel:DWORD dst_unused:UNUSED_PAD src0_sel:WORD_0 src1_sel:DWORD
	v_mul_u32_u24_sdwa v31, v4, v48 dst_sel:DWORD dst_unused:UNUSED_PAD src0_sel:WORD_1 src1_sel:DWORD
	s_waitcnt lgkmcnt(1)
	v_pk_fma_f16 v21, v60, v2, v21
	v_pk_fma_f16 v63, v59, v2, v1
	;; [unrolled: 1-line block ×4, first 2 shown]
	ds_read2_b64 v[1:4], v25 offset0:192 offset1:224
	v_pk_fma_f16 v21, v62, v29, v21
	v_pk_fma_f16 v28, v61, v29, v63
	;; [unrolled: 1-line block ×4, first 2 shown]
	ds_read_b128 v[59:62], v43 offset:32
	v_mul_u32_u24_sdwa v29, v55, v48 dst_sel:DWORD dst_unused:UNUSED_PAD src0_sel:WORD_0 src1_sel:DWORD
	v_mul_u32_u24_sdwa v31, v55, v48 dst_sel:DWORD dst_unused:UNUSED_PAD src0_sel:WORD_1 src1_sel:DWORD
	v_mul_u32_u24_sdwa v55, v56, v48 dst_sel:DWORD dst_unused:UNUSED_PAD src0_sel:WORD_0 src1_sel:DWORD
	v_mul_u32_u24_sdwa v63, v58, v48 dst_sel:DWORD dst_unused:UNUSED_PAD src0_sel:WORD_0 src1_sel:DWORD
	v_mul_u32_u24_sdwa v64, v58, v48 dst_sel:DWORD dst_unused:UNUSED_PAD src0_sel:WORD_1 src1_sel:DWORD
	s_waitcnt lgkmcnt(2)
	v_pk_fma_f16 v21, v52, v29, v21
	v_pk_fma_f16 v28, v51, v29, v28
	v_mul_u32_u24_sdwa v29, v56, v48 dst_sel:DWORD dst_unused:UNUSED_PAD src0_sel:WORD_1 src1_sel:DWORD
	v_pk_fma_f16 v22, v52, v31, v22
	v_pk_fma_f16 v26, v51, v31, v26
	;; [unrolled: 1-line block ×4, first 2 shown]
	v_mul_u32_u24_sdwa v31, v57, v48 dst_sel:DWORD dst_unused:UNUSED_PAD src0_sel:WORD_1 src1_sel:DWORD
	v_pk_fma_f16 v22, v54, v29, v22
	v_pk_fma_f16 v26, v53, v29, v26
	ds_read2_b64 v[51:54], v49 offset1:32
	v_mul_u32_u24_sdwa v29, v57, v48 dst_sel:DWORD dst_unused:UNUSED_PAD src0_sel:WORD_0 src1_sel:DWORD
	ds_read2_b64 v[55:58], v49 offset0:64 offset1:96
	s_waitcnt lgkmcnt(3)
	v_pk_fma_f16 v21, v2, v29, v21
	v_pk_fma_f16 v28, v1, v29, v28
	v_pk_fma_f16 v2, v2, v31, v22
	v_pk_fma_f16 v1, v1, v31, v26
	s_waitcnt lgkmcnt(2)
	v_mul_u32_u24_sdwa v29, v59, v48 dst_sel:DWORD dst_unused:UNUSED_PAD src0_sel:WORD_0 src1_sel:DWORD
	v_pk_fma_f16 v21, v4, v63, v21
	v_pk_fma_f16 v26, v3, v63, v28
	;; [unrolled: 1-line block ×4, first 2 shown]
	ds_read_b128 v[1:4], v43 offset:48
	v_mul_u32_u24_sdwa v31, v59, v48 dst_sel:DWORD dst_unused:UNUSED_PAD src0_sel:WORD_1 src1_sel:DWORD
	v_mul_u32_u24_sdwa v59, v60, v48 dst_sel:DWORD dst_unused:UNUSED_PAD src0_sel:WORD_0 src1_sel:DWORD
	v_mul_u32_u24_sdwa v63, v62, v48 dst_sel:DWORD dst_unused:UNUSED_PAD src0_sel:WORD_0 src1_sel:DWORD
	v_mul_u32_u24_sdwa v64, v62, v48 dst_sel:DWORD dst_unused:UNUSED_PAD src0_sel:WORD_1 src1_sel:DWORD
	s_waitcnt lgkmcnt(2)
	v_pk_fma_f16 v21, v52, v29, v21
	v_pk_fma_f16 v26, v51, v29, v26
	v_mul_u32_u24_sdwa v29, v60, v48 dst_sel:DWORD dst_unused:UNUSED_PAD src0_sel:WORD_1 src1_sel:DWORD
	v_pk_fma_f16 v22, v52, v31, v22
	v_pk_fma_f16 v28, v51, v31, v28
	;; [unrolled: 1-line block ×4, first 2 shown]
	v_mul_u32_u24_sdwa v31, v61, v48 dst_sel:DWORD dst_unused:UNUSED_PAD src0_sel:WORD_1 src1_sel:DWORD
	v_pk_fma_f16 v22, v54, v29, v22
	v_pk_fma_f16 v28, v53, v29, v28
	v_mul_u32_u24_sdwa v29, v61, v48 dst_sel:DWORD dst_unused:UNUSED_PAD src0_sel:WORD_0 src1_sel:DWORD
	ds_read2_b64 v[51:54], v49 offset0:128 offset1:160
	ds_read2_b64 v[59:62], v49 offset0:192 offset1:224
	s_waitcnt lgkmcnt(3)
	v_pk_fma_f16 v22, v56, v31, v22
	v_pk_fma_f16 v28, v55, v31, v28
	;; [unrolled: 1-line block ×4, first 2 shown]
	s_waitcnt lgkmcnt(0)
	s_barrier
	buffer_gl0_inv
	v_mul_u32_u24_sdwa v29, v1, v48 dst_sel:DWORD dst_unused:UNUSED_PAD src0_sel:WORD_0 src1_sel:DWORD
	v_pk_fma_f16 v21, v58, v63, v21
	v_pk_fma_f16 v26, v57, v63, v26
	v_mul_u32_u24_sdwa v31, v1, v48 dst_sel:DWORD dst_unused:UNUSED_PAD src0_sel:WORD_1 src1_sel:DWORD
	v_pk_fma_f16 v22, v58, v64, v22
	v_pk_fma_f16 v28, v57, v64, v28
	v_mul_u32_u24_sdwa v55, v2, v48 dst_sel:DWORD dst_unused:UNUSED_PAD src0_sel:WORD_0 src1_sel:DWORD
	v_mul_u32_u24_sdwa v56, v2, v48 dst_sel:DWORD dst_unused:UNUSED_PAD src0_sel:WORD_1 src1_sel:DWORD
	v_mul_u32_u24_sdwa v57, v3, v48 dst_sel:DWORD dst_unused:UNUSED_PAD src0_sel:WORD_0 src1_sel:DWORD
	v_mul_u32_u24_sdwa v58, v3, v48 dst_sel:DWORD dst_unused:UNUSED_PAD src0_sel:WORD_1 src1_sel:DWORD
	;; [unrolled: 2-line block ×3, first 2 shown]
	s_clause 0x1
	global_load_dwordx4 v[1:4], v[19:20], off
	global_load_dwordx4 v[17:20], v[17:18], off
	v_pk_fma_f16 v21, v52, v29, v21
	v_pk_fma_f16 v26, v51, v29, v26
	v_pk_fma_f16 v22, v52, v31, v22
	v_pk_fma_f16 v28, v51, v31, v28
	s_waitcnt vmcnt(1)
	ds_write_b128 v42, v[1:4]
	s_waitcnt vmcnt(0)
	ds_write_b128 v44, v[17:20]
	v_pk_fma_f16 v21, v54, v55, v21
	v_pk_fma_f16 v22, v54, v56, v22
	;; [unrolled: 1-line block ×4, first 2 shown]
	s_waitcnt lgkmcnt(0)
	v_pk_fma_f16 v21, v60, v57, v21
	v_pk_fma_f16 v22, v60, v58, v22
	;; [unrolled: 1-line block ×4, first 2 shown]
	s_barrier
	v_pk_fma_f16 v21, v62, v63, v21
	v_pk_fma_f16 v22, v62, v64, v22
	;; [unrolled: 1-line block ×4, first 2 shown]
	buffer_gl0_inv
	ds_read_b128 v[1:4], v43 offset:64
	ds_read2_b64 v[17:20], v25 offset1:32
	ds_read2_b64 v[51:54], v25 offset0:64 offset1:96
	ds_read_b128 v[55:58], v43 offset:80
	ds_read2_b64 v[59:62], v25 offset0:128 offset1:160
	s_waitcnt lgkmcnt(4)
	v_mul_u32_u24_sdwa v29, v1, v48 dst_sel:DWORD dst_unused:UNUSED_PAD src0_sel:WORD_0 src1_sel:DWORD
	v_mul_u32_u24_sdwa v1, v1, v48 dst_sel:DWORD dst_unused:UNUSED_PAD src0_sel:WORD_1 src1_sel:DWORD
	v_mul_u32_u24_sdwa v31, v2, v48 dst_sel:DWORD dst_unused:UNUSED_PAD src0_sel:WORD_0 src1_sel:DWORD
	v_mul_u32_u24_sdwa v2, v2, v48 dst_sel:DWORD dst_unused:UNUSED_PAD src0_sel:WORD_1 src1_sel:DWORD
	v_mul_u32_u24_sdwa v63, v4, v48 dst_sel:DWORD dst_unused:UNUSED_PAD src0_sel:WORD_1 src1_sel:DWORD
	s_waitcnt lgkmcnt(3)
	v_pk_fma_f16 v26, v17, v29, v26
	v_pk_fma_f16 v21, v18, v29, v21
	;; [unrolled: 1-line block ×4, first 2 shown]
	v_mul_u32_u24_sdwa v29, v3, v48 dst_sel:DWORD dst_unused:UNUSED_PAD src0_sel:WORD_1 src1_sel:DWORD
	v_pk_fma_f16 v22, v19, v31, v26
	v_pk_fma_f16 v21, v20, v31, v21
	;; [unrolled: 1-line block ×4, first 2 shown]
	v_mul_u32_u24_sdwa v1, v3, v48 dst_sel:DWORD dst_unused:UNUSED_PAD src0_sel:WORD_0 src1_sel:DWORD
	ds_read2_b64 v[17:20], v25 offset0:192 offset1:224
	v_mul_u32_u24_sdwa v31, v4, v48 dst_sel:DWORD dst_unused:UNUSED_PAD src0_sel:WORD_0 src1_sel:DWORD
	s_waitcnt lgkmcnt(3)
	v_pk_fma_f16 v26, v51, v29, v26
	v_pk_fma_f16 v28, v52, v29, v28
	;; [unrolled: 1-line block ×4, first 2 shown]
	ds_read_b128 v[1:4], v43 offset:96
	v_pk_fma_f16 v26, v53, v63, v26
	v_pk_fma_f16 v28, v54, v63, v28
	v_pk_fma_f16 v22, v53, v31, v22
	v_pk_fma_f16 v21, v54, v31, v21
	s_waitcnt lgkmcnt(3)
	v_mul_u32_u24_sdwa v29, v55, v48 dst_sel:DWORD dst_unused:UNUSED_PAD src0_sel:WORD_0 src1_sel:DWORD
	v_mul_u32_u24_sdwa v31, v55, v48 dst_sel:DWORD dst_unused:UNUSED_PAD src0_sel:WORD_1 src1_sel:DWORD
	ds_read2_b64 v[51:54], v49 offset1:32
	v_mul_u32_u24_sdwa v55, v56, v48 dst_sel:DWORD dst_unused:UNUSED_PAD src0_sel:WORD_0 src1_sel:DWORD
	v_mul_u32_u24_sdwa v63, v58, v48 dst_sel:DWORD dst_unused:UNUSED_PAD src0_sel:WORD_0 src1_sel:DWORD
	s_waitcnt lgkmcnt(3)
	v_pk_fma_f16 v22, v59, v29, v22
	v_pk_fma_f16 v21, v60, v29, v21
	v_mul_u32_u24_sdwa v29, v56, v48 dst_sel:DWORD dst_unused:UNUSED_PAD src0_sel:WORD_1 src1_sel:DWORD
	v_pk_fma_f16 v26, v59, v31, v26
	v_pk_fma_f16 v28, v60, v31, v28
	;; [unrolled: 1-line block ×4, first 2 shown]
	v_mul_u32_u24_sdwa v31, v57, v48 dst_sel:DWORD dst_unused:UNUSED_PAD src0_sel:WORD_1 src1_sel:DWORD
	v_pk_fma_f16 v26, v61, v29, v26
	v_pk_fma_f16 v28, v62, v29, v28
	v_mul_u32_u24_sdwa v29, v57, v48 dst_sel:DWORD dst_unused:UNUSED_PAD src0_sel:WORD_0 src1_sel:DWORD
	v_mul_u32_u24_sdwa v64, v58, v48 dst_sel:DWORD dst_unused:UNUSED_PAD src0_sel:WORD_1 src1_sel:DWORD
	ds_read2_b64 v[55:58], v49 offset0:64 offset1:96
	ds_read_b128 v[59:62], v43 offset:112
	s_waitcnt lgkmcnt(4)
	v_pk_fma_f16 v22, v17, v29, v22
	v_pk_fma_f16 v21, v18, v29, v21
	v_pk_fma_f16 v17, v17, v31, v26
	v_pk_fma_f16 v18, v18, v31, v28
	s_waitcnt lgkmcnt(3)
	v_mul_u32_u24_sdwa v29, v1, v48 dst_sel:DWORD dst_unused:UNUSED_PAD src0_sel:WORD_0 src1_sel:DWORD
	v_pk_fma_f16 v22, v19, v63, v22
	v_pk_fma_f16 v21, v20, v63, v21
	;; [unrolled: 1-line block ×4, first 2 shown]
	v_mul_u32_u24_sdwa v1, v1, v48 dst_sel:DWORD dst_unused:UNUSED_PAD src0_sel:WORD_1 src1_sel:DWORD
	ds_read2_b64 v[17:20], v49 offset0:128 offset1:160
	v_mul_u32_u24_sdwa v31, v2, v48 dst_sel:DWORD dst_unused:UNUSED_PAD src0_sel:WORD_0 src1_sel:DWORD
	s_waitcnt lgkmcnt(3)
	v_pk_fma_f16 v22, v51, v29, v22
	v_pk_fma_f16 v21, v52, v29, v21
	v_mul_u32_u24_sdwa v2, v2, v48 dst_sel:DWORD dst_unused:UNUSED_PAD src0_sel:WORD_1 src1_sel:DWORD
	v_pk_fma_f16 v26, v51, v1, v26
	v_pk_fma_f16 v1, v52, v1, v28
	;; [unrolled: 1-line block ×4, first 2 shown]
	v_mul_u32_u24_sdwa v28, v4, v48 dst_sel:DWORD dst_unused:UNUSED_PAD src0_sel:WORD_0 src1_sel:DWORD
	v_pk_fma_f16 v26, v53, v2, v26
	v_pk_fma_f16 v1, v54, v2, v1
	v_mul_u32_u24_sdwa v2, v3, v48 dst_sel:DWORD dst_unused:UNUSED_PAD src0_sel:WORD_0 src1_sel:DWORD
	v_mul_u32_u24_sdwa v3, v3, v48 dst_sel:DWORD dst_unused:UNUSED_PAD src0_sel:WORD_1 src1_sel:DWORD
	ds_read2_b64 v[51:54], v49 offset0:192 offset1:224
	v_mul_u32_u24_sdwa v4, v4, v48 dst_sel:DWORD dst_unused:UNUSED_PAD src0_sel:WORD_1 src1_sel:DWORD
	s_waitcnt lgkmcnt(0)
	v_pk_fma_f16 v22, v55, v2, v22
	v_pk_fma_f16 v2, v56, v2, v21
	v_pk_fma_f16 v26, v55, v3, v26
	v_pk_fma_f16 v1, v56, v3, v1
	s_barrier
	buffer_gl0_inv
	s_load_dword s0, s[6:7], 0x4
	v_mul_u32_u24_sdwa v29, v59, v48 dst_sel:DWORD dst_unused:UNUSED_PAD src0_sel:WORD_0 src1_sel:DWORD
	v_mul_u32_u24_sdwa v31, v59, v48 dst_sel:DWORD dst_unused:UNUSED_PAD src0_sel:WORD_1 src1_sel:DWORD
	v_pk_fma_f16 v22, v57, v28, v22
	v_pk_fma_f16 v2, v58, v28, v2
	v_pk_fma_f16 v26, v57, v4, v26
	v_pk_fma_f16 v1, v58, v4, v1
	v_mul_u32_u24_sdwa v59, v60, v48 dst_sel:DWORD dst_unused:UNUSED_PAD src0_sel:WORD_0 src1_sel:DWORD
	v_mul_u32_u24_sdwa v21, v60, v48 dst_sel:DWORD dst_unused:UNUSED_PAD src0_sel:WORD_1 src1_sel:DWORD
	v_pk_fma_f16 v22, v17, v29, v22
	v_pk_fma_f16 v17, v17, v31, v26
	v_pk_fma_f16 v2, v18, v29, v2
	v_pk_fma_f16 v1, v18, v31, v1
	;; [unrolled: 6-line block ×4, first 2 shown]
	s_waitcnt lgkmcnt(0)
	s_lshl_b32 s0, s0, 5
	v_pk_fma_f16 v29, v53, v4, v19
	v_pk_fma_f16 v28, v53, v18, v17
	;; [unrolled: 1-line block ×4, first 2 shown]
	s_add_i32 s14, s0, s14
	s_cmp_ge_i32 s14, s30
	s_cbranch_scc0 .LBB16_13
; %bb.14:
	v_mov_b32_e32 v2, v27
.LBB16_15:
	v_cmp_lt_i32_e32 vcc_lo, v36, v30
	s_cmp_lg_u64 s[16:17], 0
	s_cselect_b32 s0, -1, 0
	s_cmp_eq_u32 s28, 0
	v_cndmask_b32_e32 v1, v2, v36, vcc_lo
	v_cmp_lt_i32_e32 vcc_lo, v35, v30
	s_cselect_b32 s1, -1, 0
	s_and_b32 s0, s1, s0
	v_lshlrev_b32_e32 v1, 2, v1
	v_cndmask_b32_e32 v4, v2, v35, vcc_lo
	v_cmp_lt_i32_e32 vcc_lo, v34, v30
	ds_bpermute_b32 v3, v1, v50
	ds_bpermute_b32 v1, v1, v37
	v_lshlrev_b32_e32 v4, 2, v4
	v_cndmask_b32_e32 v7, v2, v34, vcc_lo
	v_cmp_lt_i32_e32 vcc_lo, v33, v30
	v_lshlrev_b32_e32 v7, 2, v7
	s_waitcnt lgkmcnt(1)
	v_add_f32_e32 v3, v50, v3
	s_waitcnt lgkmcnt(0)
	v_add_f32_e32 v1, v37, v1
	ds_bpermute_b32 v6, v4, v3
	ds_bpermute_b32 v4, v4, v1
	s_waitcnt lgkmcnt(1)
	v_add_f32_e32 v3, v3, v6
	s_waitcnt lgkmcnt(0)
	v_add_f32_e32 v1, v1, v4
	ds_bpermute_b32 v4, v7, v3
	ds_bpermute_b32 v6, v7, v1
	v_cndmask_b32_e32 v7, v2, v33, vcc_lo
	v_cmp_lt_i32_e32 vcc_lo, v32, v30
	v_lshlrev_b32_e32 v7, 2, v7
	v_cndmask_b32_e32 v2, v2, v32, vcc_lo
	s_and_b32 vcc_lo, exec_lo, s0
	s_mov_b32 s0, 0
	v_lshlrev_b32_e32 v2, 2, v2
	s_waitcnt lgkmcnt(1)
	v_add_f32_e32 v3, v3, v4
	s_waitcnt lgkmcnt(0)
	v_add_f32_e32 v1, v1, v6
	ds_bpermute_b32 v4, v7, v3
	ds_bpermute_b32 v6, v7, v1
	s_waitcnt lgkmcnt(1)
	v_add_f32_e32 v3, v3, v4
	s_waitcnt lgkmcnt(0)
	v_add_f32_e32 v4, v1, v6
	ds_bpermute_b32 v1, v2, v3
	ds_bpermute_b32 v2, v2, v4
	s_waitcnt lgkmcnt(1)
	v_add_f32_e32 v1, v3, v1
	s_waitcnt lgkmcnt(0)
	v_add_f32_e32 v2, v4, v2
	v_add_nc_u32_e32 v3, s33, v24
	s_cbranch_vccnz .LBB16_18
; %bb.16:
	v_mov_b32_e32 v7, v2
	v_add_nc_u32_e32 v4, s33, v24
	v_mov_b32_e32 v6, v1
	s_andn2_b32 vcc_lo, exec_lo, s0
	s_cbranch_vccz .LBB16_19
; %bb.17:
	v_mov_b32_e32 v3, v4
	s_branch .LBB16_20
.LBB16_18:
                                        ; implicit-def: $vgpr4
                                        ; implicit-def: $vgpr6_vgpr7
.LBB16_19:
	v_ashrrev_i32_e32 v4, 31, v3
	v_max_f32_e32 v9, v16, v16
	v_lshlrev_b64 v[6:7], 2, v[3:4]
	v_max_f32_e32 v4, v15, v15
	v_add_co_u32 v6, vcc_lo, s16, v6
	v_add_co_ci_u32_e64 v7, null, s17, v7, vcc_lo
	global_load_dwordx2 v[6:7], v[6:7], off
	s_waitcnt vmcnt(0)
	v_max_f32_e32 v8, v6, v6
	v_max_f32_e32 v10, v7, v7
	;; [unrolled: 1-line block ×4, first 2 shown]
	v_sub_f32_e32 v4, v15, v8
	v_sub_f32_e32 v10, v16, v9
	;; [unrolled: 1-line block ×4, first 2 shown]
	v_mul_f32_e32 v11, 0x3fb8aa3b, v4
	v_mul_f32_e32 v13, 0x3fb8aa3b, v10
	;; [unrolled: 1-line block ×4, first 2 shown]
	v_cmp_ngt_f32_e32 vcc_lo, 0xc2ce8ed0, v4
	v_fma_f32 v15, 0x3fb8aa3b, v4, -v11
	v_rndne_f32_e32 v16, v11
	v_fma_f32 v19, 0x3fb8aa3b, v10, -v13
	v_rndne_f32_e32 v20, v13
	v_fma_f32 v17, 0x3fb8aa3b, v6, -v12
	v_fmac_f32_e32 v15, 0x32a5705f, v4
	v_sub_f32_e32 v11, v11, v16
	v_rndne_f32_e32 v18, v12
	v_fmac_f32_e32 v19, 0x32a5705f, v10
	v_sub_f32_e32 v13, v13, v20
	v_fmac_f32_e32 v17, 0x32a5705f, v6
	v_add_f32_e32 v11, v11, v15
	v_sub_f32_e32 v12, v12, v18
	v_cvt_i32_f32_e32 v15, v16
	v_add_f32_e32 v13, v13, v19
	v_fma_f32 v21, 0x3fb8aa3b, v7, -v14
	v_exp_f32_e32 v11, v11
	v_add_f32_e32 v12, v12, v17
	v_rndne_f32_e32 v22, v14
	v_exp_f32_e32 v13, v13
	v_cvt_i32_f32_e32 v17, v20
	v_fmac_f32_e32 v21, 0x32a5705f, v7
	v_exp_f32_e32 v12, v12
	v_sub_f32_e32 v14, v14, v22
	v_cvt_i32_f32_e32 v16, v18
	v_cvt_i32_f32_e32 v18, v22
	v_ldexp_f32 v11, v11, v15
	v_mov_b32_e32 v19, 0x10001
	v_add_f32_e32 v14, v14, v21
	v_ldexp_f32 v13, v13, v17
	v_cndmask_b32_e32 v11, 0, v11, vcc_lo
	v_cmp_ngt_f32_e32 vcc_lo, 0xc2ce8ed0, v10
	v_ldexp_f32 v12, v12, v16
	v_exp_f32_e32 v14, v14
	v_mov_b32_e32 v16, v9
	v_mov_b32_e32 v15, v8
	v_cndmask_b32_e32 v13, 0, v13, vcc_lo
	v_cmp_ngt_f32_e32 vcc_lo, 0xc2ce8ed0, v6
	v_cndmask_b32_e32 v12, 0, v12, vcc_lo
	v_cmp_nlt_f32_e32 vcc_lo, 0x42b17218, v4
	v_ldexp_f32 v14, v14, v18
	v_cndmask_b32_e32 v4, 0x7f800000, v11, vcc_lo
	v_cmp_nlt_f32_e32 vcc_lo, 0x42b17218, v10
	v_cndmask_b32_e32 v10, 0x7f800000, v13, vcc_lo
	v_cmp_ngt_f32_e32 vcc_lo, 0xc2ce8ed0, v7
	v_cvt_f16_f32_e32 v13, v10
	v_cndmask_b32_e32 v11, 0, v14, vcc_lo
	v_cmp_nlt_f32_e32 vcc_lo, 0x42b17218, v6
	v_mul_u32_u24_sdwa v8, v13, v19 dst_sel:DWORD dst_unused:UNUSED_PAD src0_sel:WORD_0 src1_sel:DWORD
	v_cndmask_b32_e32 v6, 0x7f800000, v12, vcc_lo
	v_cmp_nlt_f32_e32 vcc_lo, 0x42b17218, v7
	v_cvt_f16_f32_e32 v12, v4
	v_pk_mul_f16 v28, v28, v8
	v_pk_mul_f16 v26, v26, v8
	v_fmac_f32_e32 v6, v1, v4
	v_cndmask_b32_e32 v7, 0x7f800000, v11, vcc_lo
	v_mul_u32_u24_sdwa v4, v12, v19 dst_sel:DWORD dst_unused:UNUSED_PAD src0_sel:WORD_0 src1_sel:DWORD
	v_mov_b32_e32 v1, v6
	v_fmac_f32_e32 v7, v2, v10
	v_pk_mul_f16 v29, v29, v4
	v_pk_mul_f16 v31, v31, v4
	v_mov_b32_e32 v2, v7
.LBB16_20:
	s_load_dword s1, s[4:5], 0xd4
	v_mov_b32_e32 v8, 1.0
	s_waitcnt lgkmcnt(0)
	s_cmp_lg_u32 s1, 1
	s_cselect_b32 s3, -1, 0
	s_cmp_eq_u32 s1, 1
	s_cselect_b32 s2, -1, 0
	s_and_b32 vcc_lo, exec_lo, s3
	s_cbranch_vccnz .LBB16_22
; %bb.21:
	v_div_scale_f32 v4, null, v1, v1, 1.0
	v_rcp_f32_e32 v8, v4
	v_fma_f32 v9, -v4, v8, 1.0
	v_fmac_f32_e32 v8, v9, v8
	v_div_scale_f32 v9, vcc_lo, 1.0, v1, 1.0
	v_mul_f32_e32 v10, v9, v8
	v_fma_f32 v11, -v4, v10, v9
	v_fmac_f32_e32 v10, v11, v8
	v_fma_f32 v4, -v4, v10, v9
	v_div_fmas_f32 v4, v4, v8, v10
	v_div_fixup_f32 v8, v4, v1, 1.0
.LBB16_22:
	v_mad_u64_u32 v[4:5], null, s29, s26, v[5:6]
	v_cmp_eq_u32_e32 vcc_lo, 0, v0
	v_mov_b32_e32 v1, 0
	v_cvt_f32_f16_sdwa v5, v29 dst_sel:DWORD dst_unused:UNUSED_PAD src0_sel:WORD_1
	v_cvt_f32_f16_e32 v11, v31
	v_cvt_f32_f16_sdwa v12, v31 dst_sel:DWORD dst_unused:UNUSED_PAD src0_sel:WORD_1
	v_mad_u64_u32 v[3:4], null, v4, s27, v[3:4]
	v_mul_f32_e32 v10, v8, v5
	v_mul_f32_e32 v11, v8, v11
	;; [unrolled: 1-line block ×3, first 2 shown]
	v_mad_u64_u32 v[3:4], null, s1, v3, s[28:29]
	v_cvt_f32_f16_e32 v4, v29
	v_mul_f32_e32 v9, v8, v4
	v_lshl_add_u32 v0, v3, 7, v23
	v_lshlrev_b64 v[0:1], 2, v[0:1]
	v_add_co_u32 v0, s0, s20, v0
	v_add_co_ci_u32_e64 v1, null, s21, v1, s0
	s_and_b32 s0, vcc_lo, s3
	global_store_dwordx4 v[0:1], v[9:12], off
	s_and_saveexec_b32 s3, s0
	s_cbranch_execz .LBB16_24
; %bb.23:
	v_ashrrev_i32_e32 v4, 31, v3
	v_mov_b32_e32 v5, v6
	v_lshlrev_b64 v[0:1], 3, v[3:4]
	v_mov_b32_e32 v4, v15
	v_add_co_u32 v0, vcc_lo, s22, v0
	v_add_co_ci_u32_e64 v1, null, s23, v1, vcc_lo
	global_store_dwordx2 v[0:1], v[4:5], off
.LBB16_24:
	s_or_b32 exec_lo, exec_lo, s3
	v_mov_b32_e32 v1, 1.0
	s_andn2_b32 vcc_lo, exec_lo, s2
	s_cbranch_vccnz .LBB16_26
; %bb.25:
	v_div_scale_f32 v0, null, v2, v2, 1.0
	v_rcp_f32_e32 v1, v0
	v_fma_f32 v4, -v0, v1, 1.0
	v_fmac_f32_e32 v1, v4, v1
	v_div_scale_f32 v4, vcc_lo, 1.0, v2, 1.0
	v_mul_f32_e32 v5, v4, v1
	v_fma_f32 v6, -v0, v5, v4
	v_fmac_f32_e32 v5, v6, v1
	v_fma_f32 v0, -v0, v5, v4
	v_div_fmas_f32 v0, v0, v1, v5
	v_div_fixup_f32 v1, v0, v2, 1.0
.LBB16_26:
	v_add_nc_u32_e32 v0, s1, v3
	v_mov_b32_e32 v3, 0
	v_cvt_f32_f16_e32 v4, v28
	v_cvt_f32_f16_sdwa v5, v28 dst_sel:DWORD dst_unused:UNUSED_PAD src0_sel:WORD_1
	v_cvt_f32_f16_e32 v6, v26
	v_lshl_add_u32 v2, v0, 7, v23
	v_cvt_f32_f16_sdwa v10, v26 dst_sel:DWORD dst_unused:UNUSED_PAD src0_sel:WORD_1
	v_lshlrev_b64 v[8:9], 2, v[2:3]
	v_mul_f32_e32 v2, v1, v4
	v_mul_f32_e32 v3, v1, v5
	v_mul_f32_e32 v4, v1, v6
	v_mul_f32_e32 v5, v1, v10
	v_add_co_u32 v8, vcc_lo, s20, v8
	v_add_co_ci_u32_e64 v9, null, s21, v9, vcc_lo
	global_store_dwordx4 v[8:9], v[2:5], off
	s_and_saveexec_b32 s1, s0
	s_cbranch_execz .LBB16_28
; %bb.27:
	v_ashrrev_i32_e32 v1, 31, v0
	v_mov_b32_e32 v6, v16
	v_lshlrev_b64 v[0:1], 3, v[0:1]
	v_add_co_u32 v0, vcc_lo, s22, v0
	v_add_co_ci_u32_e64 v1, null, s23, v1, vcc_lo
	global_store_dwordx2 v[0:1], v[6:7], off
.LBB16_28:
	s_endpgm
	.section	.rodata,"a",@progbits
	.p2align	6, 0x0
	.amdhsa_kernel _ZL15flash_attn_tileILi192ELi128ELi1ELi8ELb0EEvPKcS1_S1_S1_S1_PKiPfP15HIP_vector_typeIfLj2EEffffjfiS5_IjLj3EEiiiiiiiiiiiliiliiiiil
		.amdhsa_group_segment_fixed_size 8192
		.amdhsa_private_segment_fixed_size 0
		.amdhsa_kernarg_size 464
		.amdhsa_user_sgpr_count 6
		.amdhsa_user_sgpr_private_segment_buffer 1
		.amdhsa_user_sgpr_dispatch_ptr 0
		.amdhsa_user_sgpr_queue_ptr 0
		.amdhsa_user_sgpr_kernarg_segment_ptr 1
		.amdhsa_user_sgpr_dispatch_id 0
		.amdhsa_user_sgpr_flat_scratch_init 0
		.amdhsa_user_sgpr_private_segment_size 0
		.amdhsa_wavefront_size32 1
		.amdhsa_uses_dynamic_stack 0
		.amdhsa_system_sgpr_private_segment_wavefront_offset 0
		.amdhsa_system_sgpr_workgroup_id_x 1
		.amdhsa_system_sgpr_workgroup_id_y 1
		.amdhsa_system_sgpr_workgroup_id_z 1
		.amdhsa_system_sgpr_workgroup_info 0
		.amdhsa_system_vgpr_workitem_id 1
		.amdhsa_next_free_vgpr 68
		.amdhsa_next_free_sgpr 44
		.amdhsa_reserve_vcc 1
		.amdhsa_reserve_flat_scratch 0
		.amdhsa_float_round_mode_32 0
		.amdhsa_float_round_mode_16_64 0
		.amdhsa_float_denorm_mode_32 3
		.amdhsa_float_denorm_mode_16_64 3
		.amdhsa_dx10_clamp 1
		.amdhsa_ieee_mode 1
		.amdhsa_fp16_overflow 0
		.amdhsa_workgroup_processor_mode 1
		.amdhsa_memory_ordered 1
		.amdhsa_forward_progress 1
		.amdhsa_shared_vgpr_count 0
		.amdhsa_exception_fp_ieee_invalid_op 0
		.amdhsa_exception_fp_denorm_src 0
		.amdhsa_exception_fp_ieee_div_zero 0
		.amdhsa_exception_fp_ieee_overflow 0
		.amdhsa_exception_fp_ieee_underflow 0
		.amdhsa_exception_fp_ieee_inexact 0
		.amdhsa_exception_int_div_zero 0
	.end_amdhsa_kernel
	.section	.text._ZL15flash_attn_tileILi192ELi128ELi1ELi8ELb0EEvPKcS1_S1_S1_S1_PKiPfP15HIP_vector_typeIfLj2EEffffjfiS5_IjLj3EEiiiiiiiiiiiliiliiiiil,"axG",@progbits,_ZL15flash_attn_tileILi192ELi128ELi1ELi8ELb0EEvPKcS1_S1_S1_S1_PKiPfP15HIP_vector_typeIfLj2EEffffjfiS5_IjLj3EEiiiiiiiiiiiliiliiiiil,comdat
.Lfunc_end16:
	.size	_ZL15flash_attn_tileILi192ELi128ELi1ELi8ELb0EEvPKcS1_S1_S1_S1_PKiPfP15HIP_vector_typeIfLj2EEffffjfiS5_IjLj3EEiiiiiiiiiiiliiliiiiil, .Lfunc_end16-_ZL15flash_attn_tileILi192ELi128ELi1ELi8ELb0EEvPKcS1_S1_S1_S1_PKiPfP15HIP_vector_typeIfLj2EEffffjfiS5_IjLj3EEiiiiiiiiiiiliiliiiiil
                                        ; -- End function
	.set _ZL15flash_attn_tileILi192ELi128ELi1ELi8ELb0EEvPKcS1_S1_S1_S1_PKiPfP15HIP_vector_typeIfLj2EEffffjfiS5_IjLj3EEiiiiiiiiiiiliiliiiiil.num_vgpr, 68
	.set _ZL15flash_attn_tileILi192ELi128ELi1ELi8ELb0EEvPKcS1_S1_S1_S1_PKiPfP15HIP_vector_typeIfLj2EEffffjfiS5_IjLj3EEiiiiiiiiiiiliiliiiiil.num_agpr, 0
	.set _ZL15flash_attn_tileILi192ELi128ELi1ELi8ELb0EEvPKcS1_S1_S1_S1_PKiPfP15HIP_vector_typeIfLj2EEffffjfiS5_IjLj3EEiiiiiiiiiiiliiliiiiil.numbered_sgpr, 44
	.set _ZL15flash_attn_tileILi192ELi128ELi1ELi8ELb0EEvPKcS1_S1_S1_S1_PKiPfP15HIP_vector_typeIfLj2EEffffjfiS5_IjLj3EEiiiiiiiiiiiliiliiiiil.num_named_barrier, 0
	.set _ZL15flash_attn_tileILi192ELi128ELi1ELi8ELb0EEvPKcS1_S1_S1_S1_PKiPfP15HIP_vector_typeIfLj2EEffffjfiS5_IjLj3EEiiiiiiiiiiiliiliiiiil.private_seg_size, 0
	.set _ZL15flash_attn_tileILi192ELi128ELi1ELi8ELb0EEvPKcS1_S1_S1_S1_PKiPfP15HIP_vector_typeIfLj2EEffffjfiS5_IjLj3EEiiiiiiiiiiiliiliiiiil.uses_vcc, 1
	.set _ZL15flash_attn_tileILi192ELi128ELi1ELi8ELb0EEvPKcS1_S1_S1_S1_PKiPfP15HIP_vector_typeIfLj2EEffffjfiS5_IjLj3EEiiiiiiiiiiiliiliiiiil.uses_flat_scratch, 0
	.set _ZL15flash_attn_tileILi192ELi128ELi1ELi8ELb0EEvPKcS1_S1_S1_S1_PKiPfP15HIP_vector_typeIfLj2EEffffjfiS5_IjLj3EEiiiiiiiiiiiliiliiiiil.has_dyn_sized_stack, 0
	.set _ZL15flash_attn_tileILi192ELi128ELi1ELi8ELb0EEvPKcS1_S1_S1_S1_PKiPfP15HIP_vector_typeIfLj2EEffffjfiS5_IjLj3EEiiiiiiiiiiiliiliiiiil.has_recursion, 0
	.set _ZL15flash_attn_tileILi192ELi128ELi1ELi8ELb0EEvPKcS1_S1_S1_S1_PKiPfP15HIP_vector_typeIfLj2EEffffjfiS5_IjLj3EEiiiiiiiiiiiliiliiiiil.has_indirect_call, 0
	.section	.AMDGPU.csdata,"",@progbits
; Kernel info:
; codeLenInByte = 11144
; TotalNumSgprs: 46
; NumVgprs: 68
; ScratchSize: 0
; MemoryBound: 0
; FloatMode: 240
; IeeeMode: 1
; LDSByteSize: 8192 bytes/workgroup (compile time only)
; SGPRBlocks: 0
; VGPRBlocks: 8
; NumSGPRsForWavesPerEU: 46
; NumVGPRsForWavesPerEU: 68
; Occupancy: 12
; WaveLimiterHint : 1
; COMPUTE_PGM_RSRC2:SCRATCH_EN: 0
; COMPUTE_PGM_RSRC2:USER_SGPR: 6
; COMPUTE_PGM_RSRC2:TRAP_HANDLER: 0
; COMPUTE_PGM_RSRC2:TGID_X_EN: 1
; COMPUTE_PGM_RSRC2:TGID_Y_EN: 1
; COMPUTE_PGM_RSRC2:TGID_Z_EN: 1
; COMPUTE_PGM_RSRC2:TIDIG_COMP_CNT: 1
	.section	.text._ZL33flash_attn_stream_k_fixup_uniformILi128ELi1ELi8EEvPfPK15HIP_vector_typeIfLj2EEiiiiiiS1_IjLj3EES5_S5_,"axG",@progbits,_ZL33flash_attn_stream_k_fixup_uniformILi128ELi1ELi8EEvPfPK15HIP_vector_typeIfLj2EEiiiiiiS1_IjLj3EES5_S5_,comdat
	.globl	_ZL33flash_attn_stream_k_fixup_uniformILi128ELi1ELi8EEvPfPK15HIP_vector_typeIfLj2EEiiiiiiS1_IjLj3EES5_S5_ ; -- Begin function _ZL33flash_attn_stream_k_fixup_uniformILi128ELi1ELi8EEvPfPK15HIP_vector_typeIfLj2EEiiiiiiS1_IjLj3EES5_S5_
	.p2align	8
	.type	_ZL33flash_attn_stream_k_fixup_uniformILi128ELi1ELi8EEvPfPK15HIP_vector_typeIfLj2EEiiiiiiS1_IjLj3EES5_S5_,@function
_ZL33flash_attn_stream_k_fixup_uniformILi128ELi1ELi8EEvPfPK15HIP_vector_typeIfLj2EEiiiiiiS1_IjLj3EES5_S5_: ; @_ZL33flash_attn_stream_k_fixup_uniformILi128ELi1ELi8EEvPfPK15HIP_vector_typeIfLj2EEiiiiiiS1_IjLj3EES5_S5_
; %bb.0:
	s_clause 0x1
	s_load_dwordx8 s[12:19], s[4:5], 0x1c
	s_load_dwordx4 s[0:3], s[4:5], 0x3c
	s_waitcnt lgkmcnt(0)
	s_mul_hi_u32 s9, s15, s6
	s_add_i32 s9, s6, s9
	s_lshr_b32 s9, s9, s16
	s_mul_i32 s10, s9, s17
	s_sub_i32 s16, s6, s10
	s_load_dwordx2 s[10:11], s[4:5], 0x10
	s_mul_hi_u32 s15, s16, s18
	s_add_i32 s15, s16, s15
	s_lshr_b32 s15, s15, s19
	s_mul_i32 s0, s15, s0
	s_sub_i32 s0, s16, s0
	s_mul_hi_u32 s1, s0, s1
	s_add_i32 s1, s0, s1
	s_lshr_b32 s1, s1, s2
	s_mul_i32 s2, s1, s3
	s_lshl_b32 s17, s1, 3
	s_sub_i32 s16, s0, s2
	s_add_i32 s16, s16, s7
	s_waitcnt lgkmcnt(0)
	s_cmp_lt_i32 s16, s10
	s_cselect_b32 s0, -1, 0
	s_add_i32 s17, s17, s8
	s_cmp_lt_i32 s17, s13
	s_cselect_b32 s1, -1, 0
	s_and_b32 s0, s0, s1
	s_andn2_b32 vcc_lo, exec_lo, s0
	s_cbranch_vccnz .LBB17_6
; %bb.1:
	s_mul_i32 s9, s9, s10
	s_load_dwordx4 s[0:3], s[4:5], 0x0
	s_mul_i32 s15, s15, s13
	s_add_i32 s4, s16, s9
	s_add_i32 s5, s17, s15
	s_mul_i32 s4, s4, s11
	s_add_i32 s5, s5, s4
	s_mul_i32 s4, s14, s6
	v_lshl_or_b32 v1, s5, 7, v0
	s_add_i32 s10, s4, s14
	v_ashrrev_i32_e32 v2, 31, v1
	v_lshlrev_b64 v[1:2], 2, v[1:2]
	s_waitcnt lgkmcnt(0)
	v_add_co_u32 v1, vcc_lo, s0, v1
	v_add_co_ci_u32_e64 v2, null, s1, v2, vcc_lo
	s_add_i32 s0, s7, s10
	s_lshl_b32 s0, s0, 3
	global_load_dword v5, v[1:2], off
	s_add_i32 s0, s0, s8
	s_add_i32 s0, s0, -8
	s_ashr_i32 s1, s0, 31
	s_lshl_b64 s[0:1], s[0:1], 3
	s_add_u32 s0, s2, s0
	s_addc_u32 s1, s3, s1
	s_add_i32 s5, s10, -2
	s_load_dword s11, s[0:1], 0x4
	s_cmp_lt_i32 s5, s4
	s_cbranch_scc1 .LBB17_4
; %bb.2:
	s_lshl_b32 s16, s12, 5
	s_load_dword s13, s[0:1], 0x0
	s_ashr_i32 s17, s16, 31
	s_waitcnt lgkmcnt(0)
	v_mov_b32_e32 v6, s11
	s_lshl_b64 s[0:1], s[16:17], 2
	s_add_u32 s5, s2, s0
	s_addc_u32 s9, s3, s1
	s_add_i32 s6, s6, 1
	s_lshl_b32 s0, s8, 7
	s_lshl_b32 s1, s7, 10
	s_mul_i32 s6, s14, s6
	s_add_i32 s0, s0, s1
	s_lshl_b32 s1, s6, 10
	s_add_i32 s6, s10, -1
	s_add_i32 s0, s0, s1
	s_add_i32 s1, s7, s12
	v_or_b32_e32 v0, s0, v0
	s_add_i32 s1, s1, s10
	s_lshl_b32 s0, s1, 3
	v_add_nc_u32_e32 v3, 0xfffff800, v0
	v_mov_b32_e32 v0, s13
	s_add_i32 s0, s8, s0
	s_add_i32 s0, s0, -16
.LBB17_3:                               ; =>This Inner Loop Header: Depth=1
	v_ashrrev_i32_e32 v4, 31, v3
	s_ashr_i32 s1, s0, 31
	s_lshl_b64 s[10:11], s[0:1], 3
	s_add_u32 s10, s2, s10
	v_lshlrev_b64 v[7:8], 2, v[3:4]
	s_addc_u32 s11, s3, s11
	v_add_nc_u32_e32 v3, 0xfffffc00, v3
	s_add_i32 s6, s6, -1
	s_add_i32 s0, s0, -8
	s_cmp_le_i32 s6, s4
	v_add_co_u32 v7, vcc_lo, s5, v7
	v_add_co_ci_u32_e64 v8, null, s9, v8, vcc_lo
	s_load_dwordx2 s[10:11], s[10:11], 0x0
	global_load_dword v4, v[7:8], off
	v_max_f32_e32 v7, v0, v0
	s_waitcnt lgkmcnt(0)
	v_max_f32_e64 v8, s10, s10
	v_max_f32_e32 v7, v7, v8
	v_sub_f32_e32 v8, s10, v7
	v_sub_f32_e32 v0, v0, v7
	v_mul_f32_e32 v9, 0x3fb8aa3b, v8
	v_mul_f32_e32 v12, 0x3fb8aa3b, v0
	v_cmp_ngt_f32_e32 vcc_lo, 0xc2ce8ed0, v8
	v_fma_f32 v10, 0x3fb8aa3b, v8, -v9
	v_rndne_f32_e32 v11, v9
	v_fma_f32 v13, 0x3fb8aa3b, v0, -v12
	v_rndne_f32_e32 v14, v12
	v_fmac_f32_e32 v10, 0x32a5705f, v8
	v_sub_f32_e32 v9, v9, v11
	v_fmac_f32_e32 v13, 0x32a5705f, v0
	v_cvt_i32_f32_e32 v11, v11
	v_add_f32_e32 v9, v9, v10
	v_sub_f32_e32 v10, v12, v14
	v_exp_f32_e32 v9, v9
	v_add_f32_e32 v10, v10, v13
	v_exp_f32_e32 v10, v10
	v_ldexp_f32 v9, v9, v11
	v_cvt_i32_f32_e32 v11, v14
	v_cndmask_b32_e32 v9, 0, v9, vcc_lo
	v_cmp_nlt_f32_e32 vcc_lo, 0x42b17218, v8
	v_ldexp_f32 v10, v10, v11
	v_mov_b32_e32 v11, v6
	v_cndmask_b32_e32 v9, 0x7f800000, v9, vcc_lo
	v_cmp_ngt_f32_e32 vcc_lo, 0xc2ce8ed0, v0
	v_cndmask_b32_e32 v10, 0, v10, vcc_lo
	v_cmp_le_f32_e32 vcc_lo, 0xc1a00000, v8
	v_cndmask_b32_e32 v8, 0, v9, vcc_lo
	v_cmp_nlt_f32_e32 vcc_lo, 0x42b17218, v0
	s_waitcnt vmcnt(1)
	v_mov_b32_e32 v9, v5
	v_cndmask_b32_e32 v5, 0x7f800000, v10, vcc_lo
	v_mul_f32_e32 v10, s11, v8
	v_cmp_le_f32_e32 vcc_lo, 0xc1a00000, v0
	v_mov_b32_e32 v0, v7
	v_mov_b32_e32 v6, v10
	v_cndmask_b32_e32 v12, 0, v5, vcc_lo
	v_fmac_f32_e32 v6, v11, v12
	s_waitcnt vmcnt(0)
	v_mul_f32_e32 v5, v4, v8
	v_fmac_f32_e32 v5, v9, v12
	s_cbranch_scc0 .LBB17_3
	s_branch .LBB17_5
.LBB17_4:
	s_waitcnt lgkmcnt(0)
	v_mov_b32_e32 v6, s11
.LBB17_5:
	s_waitcnt vmcnt(0)
	v_div_scale_f32 v0, null, v6, v6, v5
	v_rcp_f32_e32 v3, v0
	v_fma_f32 v4, -v0, v3, 1.0
	v_fmac_f32_e32 v3, v4, v3
	v_div_scale_f32 v4, vcc_lo, v5, v6, v5
	v_mul_f32_e32 v7, v4, v3
	v_fma_f32 v8, -v0, v7, v4
	v_fmac_f32_e32 v7, v8, v3
	v_fma_f32 v0, -v0, v7, v4
	v_div_fmas_f32 v0, v0, v3, v7
	v_div_fixup_f32 v0, v0, v6, v5
	global_store_dword v[1:2], v0, off
.LBB17_6:
	s_endpgm
	.section	.rodata,"a",@progbits
	.p2align	6, 0x0
	.amdhsa_kernel _ZL33flash_attn_stream_k_fixup_uniformILi128ELi1ELi8EEvPfPK15HIP_vector_typeIfLj2EEiiiiiiS1_IjLj3EES5_S5_
		.amdhsa_group_segment_fixed_size 0
		.amdhsa_private_segment_fixed_size 0
		.amdhsa_kernarg_size 76
		.amdhsa_user_sgpr_count 6
		.amdhsa_user_sgpr_private_segment_buffer 1
		.amdhsa_user_sgpr_dispatch_ptr 0
		.amdhsa_user_sgpr_queue_ptr 0
		.amdhsa_user_sgpr_kernarg_segment_ptr 1
		.amdhsa_user_sgpr_dispatch_id 0
		.amdhsa_user_sgpr_flat_scratch_init 0
		.amdhsa_user_sgpr_private_segment_size 0
		.amdhsa_wavefront_size32 1
		.amdhsa_uses_dynamic_stack 0
		.amdhsa_system_sgpr_private_segment_wavefront_offset 0
		.amdhsa_system_sgpr_workgroup_id_x 1
		.amdhsa_system_sgpr_workgroup_id_y 1
		.amdhsa_system_sgpr_workgroup_id_z 1
		.amdhsa_system_sgpr_workgroup_info 0
		.amdhsa_system_vgpr_workitem_id 0
		.amdhsa_next_free_vgpr 15
		.amdhsa_next_free_sgpr 20
		.amdhsa_reserve_vcc 1
		.amdhsa_reserve_flat_scratch 0
		.amdhsa_float_round_mode_32 0
		.amdhsa_float_round_mode_16_64 0
		.amdhsa_float_denorm_mode_32 3
		.amdhsa_float_denorm_mode_16_64 3
		.amdhsa_dx10_clamp 1
		.amdhsa_ieee_mode 1
		.amdhsa_fp16_overflow 0
		.amdhsa_workgroup_processor_mode 1
		.amdhsa_memory_ordered 1
		.amdhsa_forward_progress 1
		.amdhsa_shared_vgpr_count 0
		.amdhsa_exception_fp_ieee_invalid_op 0
		.amdhsa_exception_fp_denorm_src 0
		.amdhsa_exception_fp_ieee_div_zero 0
		.amdhsa_exception_fp_ieee_overflow 0
		.amdhsa_exception_fp_ieee_underflow 0
		.amdhsa_exception_fp_ieee_inexact 0
		.amdhsa_exception_int_div_zero 0
	.end_amdhsa_kernel
	.section	.text._ZL33flash_attn_stream_k_fixup_uniformILi128ELi1ELi8EEvPfPK15HIP_vector_typeIfLj2EEiiiiiiS1_IjLj3EES5_S5_,"axG",@progbits,_ZL33flash_attn_stream_k_fixup_uniformILi128ELi1ELi8EEvPfPK15HIP_vector_typeIfLj2EEiiiiiiS1_IjLj3EES5_S5_,comdat
.Lfunc_end17:
	.size	_ZL33flash_attn_stream_k_fixup_uniformILi128ELi1ELi8EEvPfPK15HIP_vector_typeIfLj2EEiiiiiiS1_IjLj3EES5_S5_, .Lfunc_end17-_ZL33flash_attn_stream_k_fixup_uniformILi128ELi1ELi8EEvPfPK15HIP_vector_typeIfLj2EEiiiiiiS1_IjLj3EES5_S5_
                                        ; -- End function
	.set _ZL33flash_attn_stream_k_fixup_uniformILi128ELi1ELi8EEvPfPK15HIP_vector_typeIfLj2EEiiiiiiS1_IjLj3EES5_S5_.num_vgpr, 15
	.set _ZL33flash_attn_stream_k_fixup_uniformILi128ELi1ELi8EEvPfPK15HIP_vector_typeIfLj2EEiiiiiiS1_IjLj3EES5_S5_.num_agpr, 0
	.set _ZL33flash_attn_stream_k_fixup_uniformILi128ELi1ELi8EEvPfPK15HIP_vector_typeIfLj2EEiiiiiiS1_IjLj3EES5_S5_.numbered_sgpr, 20
	.set _ZL33flash_attn_stream_k_fixup_uniformILi128ELi1ELi8EEvPfPK15HIP_vector_typeIfLj2EEiiiiiiS1_IjLj3EES5_S5_.num_named_barrier, 0
	.set _ZL33flash_attn_stream_k_fixup_uniformILi128ELi1ELi8EEvPfPK15HIP_vector_typeIfLj2EEiiiiiiS1_IjLj3EES5_S5_.private_seg_size, 0
	.set _ZL33flash_attn_stream_k_fixup_uniformILi128ELi1ELi8EEvPfPK15HIP_vector_typeIfLj2EEiiiiiiS1_IjLj3EES5_S5_.uses_vcc, 1
	.set _ZL33flash_attn_stream_k_fixup_uniformILi128ELi1ELi8EEvPfPK15HIP_vector_typeIfLj2EEiiiiiiS1_IjLj3EES5_S5_.uses_flat_scratch, 0
	.set _ZL33flash_attn_stream_k_fixup_uniformILi128ELi1ELi8EEvPfPK15HIP_vector_typeIfLj2EEiiiiiiS1_IjLj3EES5_S5_.has_dyn_sized_stack, 0
	.set _ZL33flash_attn_stream_k_fixup_uniformILi128ELi1ELi8EEvPfPK15HIP_vector_typeIfLj2EEiiiiiiS1_IjLj3EES5_S5_.has_recursion, 0
	.set _ZL33flash_attn_stream_k_fixup_uniformILi128ELi1ELi8EEvPfPK15HIP_vector_typeIfLj2EEiiiiiiS1_IjLj3EES5_S5_.has_indirect_call, 0
	.section	.AMDGPU.csdata,"",@progbits
; Kernel info:
; codeLenInByte = 824
; TotalNumSgprs: 22
; NumVgprs: 15
; ScratchSize: 0
; MemoryBound: 0
; FloatMode: 240
; IeeeMode: 1
; LDSByteSize: 0 bytes/workgroup (compile time only)
; SGPRBlocks: 0
; VGPRBlocks: 1
; NumSGPRsForWavesPerEU: 22
; NumVGPRsForWavesPerEU: 15
; Occupancy: 16
; WaveLimiterHint : 0
; COMPUTE_PGM_RSRC2:SCRATCH_EN: 0
; COMPUTE_PGM_RSRC2:USER_SGPR: 6
; COMPUTE_PGM_RSRC2:TRAP_HANDLER: 0
; COMPUTE_PGM_RSRC2:TGID_X_EN: 1
; COMPUTE_PGM_RSRC2:TGID_Y_EN: 1
; COMPUTE_PGM_RSRC2:TGID_Z_EN: 1
; COMPUTE_PGM_RSRC2:TIDIG_COMP_CNT: 0
	.section	.text._ZL33flash_attn_stream_k_fixup_generalILi128ELi1ELi8EEvPfPK15HIP_vector_typeIfLj2EEiiiiS1_IjLj3EES5_S5_S5_,"axG",@progbits,_ZL33flash_attn_stream_k_fixup_generalILi128ELi1ELi8EEvPfPK15HIP_vector_typeIfLj2EEiiiiS1_IjLj3EES5_S5_S5_,comdat
	.globl	_ZL33flash_attn_stream_k_fixup_generalILi128ELi1ELi8EEvPfPK15HIP_vector_typeIfLj2EEiiiiS1_IjLj3EES5_S5_S5_ ; -- Begin function _ZL33flash_attn_stream_k_fixup_generalILi128ELi1ELi8EEvPfPK15HIP_vector_typeIfLj2EEiiiiS1_IjLj3EES5_S5_S5_
	.p2align	8
	.type	_ZL33flash_attn_stream_k_fixup_generalILi128ELi1ELi8EEvPfPK15HIP_vector_typeIfLj2EEiiiiS1_IjLj3EES5_S5_S5_,@function
_ZL33flash_attn_stream_k_fixup_generalILi128ELi1ELi8EEvPfPK15HIP_vector_typeIfLj2EEiiiiS1_IjLj3EES5_S5_S5_: ; @_ZL33flash_attn_stream_k_fixup_generalILi128ELi1ELi8EEvPfPK15HIP_vector_typeIfLj2EEiiiiS1_IjLj3EES5_S5_S5_
; %bb.0:
	s_clause 0x1
	s_load_dwordx4 s[0:3], s[4:5], 0x10
	s_load_dword s9, s[4:5], 0x50
	s_mov_b32 s16, 0
	s_waitcnt lgkmcnt(0)
	s_mul_hi_i32 s17, s3, s6
	s_mul_i32 s18, s3, s6
	s_cmp_lg_u64 s[16:17], 0
	s_cbranch_scc0 .LBB18_21
; %bb.1:
	s_add_u32 s10, s9, 0
	s_addc_u32 s11, 0, 0
	s_xor_b64 s[10:11], s[10:11], 0
	v_cvt_f32_u32_e32 v1, s10
	v_cvt_f32_u32_e32 v2, s11
	s_sub_u32 s14, 0, s10
	s_subb_u32 s15, 0, s11
	v_fmamk_f32 v1, v2, 0x4f800000, v1
	v_rcp_f32_e32 v1, v1
	v_mul_f32_e32 v1, 0x5f7ffffc, v1
	v_mul_f32_e32 v2, 0x2f800000, v1
	v_trunc_f32_e32 v2, v2
	v_fmamk_f32 v1, v2, 0xcf800000, v1
	v_cvt_u32_f32_e32 v2, v2
	v_cvt_u32_f32_e32 v1, v1
	v_readfirstlane_b32 s12, v2
	v_readfirstlane_b32 s13, v1
	s_mul_i32 s19, s14, s12
	s_mul_hi_u32 s21, s14, s13
	s_mul_i32 s20, s15, s13
	s_add_i32 s19, s21, s19
	s_mul_i32 s22, s14, s13
	s_add_i32 s19, s19, s20
	s_mul_hi_u32 s21, s13, s22
	s_mul_i32 s24, s13, s19
	s_mul_hi_u32 s23, s12, s22
	s_mul_i32 s20, s12, s22
	s_mul_hi_u32 s22, s13, s19
	s_add_u32 s21, s21, s24
	s_addc_u32 s22, 0, s22
	s_mul_hi_u32 s25, s12, s19
	s_add_u32 s20, s21, s20
	s_mul_i32 s19, s12, s19
	s_addc_u32 s20, s22, s23
	s_addc_u32 s21, s25, 0
	s_add_u32 s19, s20, s19
	s_addc_u32 s20, 0, s21
	s_add_u32 s13, s13, s19
	s_cselect_b32 s19, -1, 0
	s_mul_hi_u32 s21, s14, s13
	s_cmp_lg_u32 s19, 0
	s_mul_i32 s19, s14, s13
	s_addc_u32 s12, s12, s20
	s_mul_i32 s15, s15, s13
	s_mul_i32 s14, s14, s12
	s_mul_hi_u32 s20, s13, s19
	s_add_i32 s14, s21, s14
	s_mul_hi_u32 s21, s12, s19
	s_add_i32 s14, s14, s15
	s_mul_i32 s15, s12, s19
	s_mul_i32 s23, s13, s14
	s_mul_hi_u32 s22, s13, s14
	s_add_u32 s20, s20, s23
	s_addc_u32 s22, 0, s22
	s_mul_hi_u32 s19, s12, s14
	s_add_u32 s15, s20, s15
	s_mul_i32 s14, s12, s14
	s_addc_u32 s15, s22, s21
	s_addc_u32 s19, s19, 0
	s_add_u32 s14, s15, s14
	s_addc_u32 s15, 0, s19
	s_add_u32 s19, s13, s14
	s_cselect_b32 s13, -1, 0
	s_cmp_lg_u32 s13, 0
	s_addc_u32 s20, s12, s15
	s_ashr_i32 s12, s17, 31
	s_add_u32 s14, s18, s12
	s_mov_b32 s13, s12
	s_addc_u32 s15, s17, s12
	s_xor_b64 s[14:15], s[14:15], s[12:13]
	s_mul_i32 s21, s14, s20
	s_mul_hi_u32 s22, s14, s19
	s_mul_hi_u32 s17, s14, s20
	;; [unrolled: 1-line block ×3, first 2 shown]
	s_mul_i32 s19, s15, s19
	s_add_u32 s21, s22, s21
	s_addc_u32 s17, 0, s17
	s_mul_hi_u32 s23, s15, s20
	s_add_u32 s19, s21, s19
	s_mul_i32 s20, s15, s20
	s_addc_u32 s17, s17, s24
	s_addc_u32 s19, s23, 0
	s_add_u32 s17, s17, s20
	s_addc_u32 s19, 0, s19
	s_mul_hi_u32 s20, s10, s17
	s_mul_i32 s21, s10, s19
	s_mul_i32 s22, s11, s17
	s_add_i32 s20, s20, s21
	s_mul_i32 s21, s10, s17
	s_add_i32 s20, s20, s22
	s_sub_i32 s22, s15, s20
	s_sub_u32 s14, s14, s21
	s_cselect_b32 s21, -1, 0
	s_cmp_lg_u32 s21, 0
	s_subb_u32 s22, s22, s11
	s_sub_u32 s23, s14, s10
	s_cselect_b32 s24, -1, 0
	s_cmp_lg_u32 s24, 0
	s_subb_u32 s22, s22, 0
	s_cmp_ge_u32 s22, s11
	s_cselect_b32 s24, -1, 0
	s_cmp_ge_u32 s23, s10
	s_cselect_b32 s23, -1, 0
	s_cmp_eq_u32 s22, s11
	s_cselect_b32 s22, s23, s24
	s_add_u32 s23, s17, 1
	s_addc_u32 s24, s19, 0
	s_add_u32 s25, s17, 2
	s_addc_u32 s26, s19, 0
	s_cmp_lg_u32 s22, 0
	s_cselect_b32 s22, s25, s23
	s_cselect_b32 s23, s26, s24
	s_cmp_lg_u32 s21, 0
	s_subb_u32 s15, s15, s20
	s_cmp_ge_u32 s15, s11
	s_cselect_b32 s20, -1, 0
	s_cmp_ge_u32 s14, s10
	s_cselect_b32 s10, -1, 0
	s_cmp_eq_u32 s15, s11
	s_cselect_b32 s10, s10, s20
	s_cmp_lg_u32 s10, 0
	s_cselect_b32 s11, s23, s19
	s_cselect_b32 s10, s22, s17
	s_xor_b64 s[12:13], s[12:13], 0
	s_xor_b64 s[10:11], s[10:11], s[12:13]
	s_sub_u32 s10, s10, s12
	s_load_dwordx4 s[12:15], s[4:5], 0x44
	s_andn2_b32 vcc_lo, exec_lo, s16
	s_cbranch_vccnz .LBB18_3
.LBB18_2:
	v_cvt_f32_u32_e32 v1, s9
	s_sub_i32 s11, 0, s9
	v_rcp_iflag_f32_e32 v1, v1
	v_mul_f32_e32 v1, 0x4f7ffffe, v1
	v_cvt_u32_f32_e32 v1, v1
	v_readfirstlane_b32 s10, v1
	s_mul_i32 s11, s11, s10
	s_mul_hi_u32 s11, s10, s11
	s_add_i32 s10, s10, s11
	s_mul_hi_u32 s10, s18, s10
	s_mul_i32 s11, s10, s9
	s_waitcnt lgkmcnt(0)
	s_add_i32 s15, s10, 1
	s_sub_i32 s11, s18, s11
	s_sub_i32 s16, s11, s9
	s_cmp_ge_u32 s11, s9
	s_cselect_b32 s10, s15, s10
	s_cselect_b32 s11, s16, s11
	s_add_i32 s15, s10, 1
	s_cmp_ge_u32 s11, s9
	s_cselect_b32 s10, s15, s10
.LBB18_3:
	s_add_i32 s11, s6, 1
	s_mov_b32 s16, 0
	s_mul_hi_i32 s17, s3, s11
	s_mul_i32 s11, s3, s11
	s_cmp_lg_u64 s[16:17], 0
	s_cbranch_scc0 .LBB18_22
; %bb.4:
	s_add_u32 s18, s9, 0
	s_addc_u32 s19, 0, 0
	s_xor_b64 s[18:19], s[18:19], 0
	v_cvt_f32_u32_e32 v1, s18
	v_cvt_f32_u32_e32 v2, s19
	s_sub_u32 s21, 0, s18
	s_subb_u32 s22, 0, s19
	v_fmamk_f32 v1, v2, 0x4f800000, v1
	v_rcp_f32_e32 v1, v1
	v_mul_f32_e32 v1, 0x5f7ffffc, v1
	v_mul_f32_e32 v2, 0x2f800000, v1
	v_trunc_f32_e32 v2, v2
	v_fmamk_f32 v1, v2, 0xcf800000, v1
	v_cvt_u32_f32_e32 v2, v2
	v_cvt_u32_f32_e32 v1, v1
	s_waitcnt lgkmcnt(0)
	v_readfirstlane_b32 s15, v2
	v_readfirstlane_b32 s20, v1
	s_mul_i32 s23, s21, s15
	s_mul_hi_u32 s25, s21, s20
	s_mul_i32 s24, s22, s20
	s_add_i32 s23, s25, s23
	s_mul_i32 s26, s21, s20
	s_add_i32 s23, s23, s24
	s_mul_hi_u32 s25, s20, s26
	s_mul_i32 s28, s20, s23
	s_mul_hi_u32 s27, s15, s26
	s_mul_i32 s24, s15, s26
	s_mul_hi_u32 s26, s20, s23
	s_add_u32 s25, s25, s28
	s_addc_u32 s26, 0, s26
	s_mul_hi_u32 s29, s15, s23
	s_add_u32 s24, s25, s24
	s_mul_i32 s23, s15, s23
	s_addc_u32 s24, s26, s27
	s_addc_u32 s25, s29, 0
	s_add_u32 s23, s24, s23
	s_addc_u32 s24, 0, s25
	s_add_u32 s20, s20, s23
	s_cselect_b32 s23, -1, 0
	s_mul_hi_u32 s25, s21, s20
	s_cmp_lg_u32 s23, 0
	s_mul_i32 s23, s21, s20
	s_addc_u32 s15, s15, s24
	s_mul_i32 s22, s22, s20
	s_mul_i32 s21, s21, s15
	s_mul_hi_u32 s24, s20, s23
	s_add_i32 s21, s25, s21
	s_mul_hi_u32 s25, s15, s23
	s_add_i32 s21, s21, s22
	s_mul_i32 s22, s15, s23
	s_mul_i32 s27, s20, s21
	s_mul_hi_u32 s26, s20, s21
	s_add_u32 s24, s24, s27
	s_addc_u32 s26, 0, s26
	s_mul_hi_u32 s23, s15, s21
	s_add_u32 s22, s24, s22
	s_mul_i32 s21, s15, s21
	s_addc_u32 s22, s26, s25
	s_addc_u32 s23, s23, 0
	s_add_u32 s21, s22, s21
	s_addc_u32 s22, 0, s23
	s_add_u32 s24, s20, s21
	s_cselect_b32 s20, -1, 0
	s_cmp_lg_u32 s20, 0
	s_addc_u32 s15, s15, s22
	s_ashr_i32 s20, s17, 31
	s_add_u32 s22, s11, s20
	s_mov_b32 s21, s20
	s_addc_u32 s23, s17, s20
	s_xor_b64 s[22:23], s[22:23], s[20:21]
	s_mul_i32 s25, s22, s15
	s_mul_hi_u32 s26, s22, s24
	s_mul_hi_u32 s17, s22, s15
	;; [unrolled: 1-line block ×3, first 2 shown]
	s_mul_i32 s24, s23, s24
	s_add_u32 s25, s26, s25
	s_addc_u32 s17, 0, s17
	s_mul_hi_u32 s27, s23, s15
	s_add_u32 s24, s25, s24
	s_mul_i32 s15, s23, s15
	s_addc_u32 s17, s17, s28
	s_addc_u32 s24, s27, 0
	s_add_u32 s15, s17, s15
	s_addc_u32 s17, 0, s24
	s_mul_hi_u32 s24, s18, s15
	s_mul_i32 s25, s18, s17
	s_mul_i32 s26, s19, s15
	s_add_i32 s24, s24, s25
	s_mul_i32 s25, s18, s15
	s_add_i32 s24, s24, s26
	s_sub_i32 s26, s23, s24
	s_sub_u32 s22, s22, s25
	s_cselect_b32 s25, -1, 0
	s_cmp_lg_u32 s25, 0
	s_subb_u32 s26, s26, s19
	s_sub_u32 s27, s22, s18
	s_cselect_b32 s28, -1, 0
	s_cmp_lg_u32 s28, 0
	s_subb_u32 s26, s26, 0
	s_cmp_ge_u32 s26, s19
	s_cselect_b32 s28, -1, 0
	s_cmp_ge_u32 s27, s18
	s_cselect_b32 s27, -1, 0
	s_cmp_eq_u32 s26, s19
	s_cselect_b32 s26, s27, s28
	s_add_u32 s27, s15, 1
	s_addc_u32 s28, s17, 0
	s_add_u32 s29, s15, 2
	s_addc_u32 s30, s17, 0
	s_cmp_lg_u32 s26, 0
	s_cselect_b32 s26, s29, s27
	s_cselect_b32 s27, s30, s28
	s_cmp_lg_u32 s25, 0
	s_subb_u32 s23, s23, s24
	s_cmp_ge_u32 s23, s19
	s_cselect_b32 s24, -1, 0
	s_cmp_ge_u32 s22, s18
	s_cselect_b32 s18, -1, 0
	s_cmp_eq_u32 s23, s19
	s_cselect_b32 s18, s18, s24
	s_cmp_lg_u32 s18, 0
	s_cselect_b32 s19, s27, s17
	s_cselect_b32 s18, s26, s15
	s_xor_b64 s[20:21], s[20:21], 0
	s_xor_b64 s[18:19], s[18:19], s[20:21]
	s_sub_u32 s18, s18, s20
	s_andn2_b32 vcc_lo, exec_lo, s16
	s_cbranch_vccnz .LBB18_6
.LBB18_5:
	v_cvt_f32_u32_e32 v1, s9
	s_sub_i32 s16, 0, s9
	v_rcp_iflag_f32_e32 v1, v1
	v_mul_f32_e32 v1, 0x4f7ffffe, v1
	v_cvt_u32_f32_e32 v1, v1
	s_waitcnt lgkmcnt(0)
	v_readfirstlane_b32 s15, v1
	s_mul_i32 s16, s16, s15
	s_mul_hi_u32 s16, s15, s16
	s_add_i32 s15, s15, s16
	s_mul_hi_u32 s15, s11, s15
	s_mul_i32 s16, s15, s9
	s_sub_i32 s11, s11, s16
	s_add_i32 s16, s15, 1
	s_sub_i32 s17, s11, s9
	s_cmp_ge_u32 s11, s9
	s_cselect_b32 s15, s16, s15
	s_cselect_b32 s11, s17, s11
	s_add_i32 s16, s15, 1
	s_cmp_ge_u32 s11, s9
	s_cselect_b32 s18, s16, s15
.LBB18_6:
	s_cmp_eq_u32 s10, s18
	s_waitcnt lgkmcnt(0)
	s_mul_hi_u32 s11, s10, s12
	s_cselect_b32 s15, -1, 0
	s_add_i32 s11, s11, s10
	s_lshr_b32 s11, s11, s13
	s_mul_i32 s16, s11, s14
	s_cmp_eq_u32 s16, s10
	s_mul_hi_u32 s16, s18, s12
	s_cselect_b32 s17, -1, 0
	s_add_i32 s16, s16, s18
	s_lshr_b32 s16, s16, s13
	s_cmp_eq_u32 s11, s16
	s_mul_i32 s16, s16, s14
	s_cselect_b32 s19, -1, 0
	s_cmp_lg_u32 s16, s18
	s_cselect_b32 s16, -1, 0
	s_or_b32 s15, s15, s17
	s_and_b32 s16, s19, s16
	s_or_b32 s15, s15, s16
	s_and_b32 vcc_lo, exec_lo, s15
	s_cbranch_vccnz .LBB18_24
; %bb.7:
	s_load_dwordx8 s[16:23], s[4:5], 0x20
	s_waitcnt lgkmcnt(0)
	s_mul_hi_u32 s15, s10, s16
	s_load_dword s16, s[4:5], 0x40
	s_add_i32 s15, s15, s10
	s_lshr_b32 s15, s15, s17
	s_mul_i32 s17, s15, s18
	s_sub_i32 s17, s10, s17
	s_mul_hi_u32 s18, s17, s19
	s_add_i32 s18, s17, s18
	s_lshr_b32 s20, s18, s20
	s_mul_i32 s18, s20, s21
	s_sub_i32 s17, s17, s18
	s_mul_hi_u32 s18, s17, s22
	s_add_i32 s18, s17, s18
	s_lshr_b32 s18, s18, s23
	s_waitcnt lgkmcnt(0)
	s_mul_i32 s16, s18, s16
	s_lshl_b32 s22, s18, 3
	s_sub_i32 s16, s17, s16
	s_mul_hi_u32 s17, s16, s12
	s_add_i32 s16, s16, s17
	s_lshr_b32 s21, s16, s13
	s_add_i32 s21, s21, s7
	s_cmp_lt_i32 s21, s0
	s_cselect_b32 s16, -1, 0
	s_add_i32 s22, s22, s8
	s_cmp_lt_i32 s22, s2
	s_cselect_b32 s17, -1, 0
	s_and_b32 s16, s16, s17
	s_andn2_b32 vcc_lo, exec_lo, s16
	s_cbranch_vccnz .LBB18_24
; %bb.8:
	s_load_dwordx4 s[16:19], s[4:5], 0x0
	s_mov_b32 s4, 0
	s_lshl_b32 s24, s9, 5
	s_mov_b32 s25, s4
	s_mul_i32 s0, s15, s0
	s_lshl_b64 s[24:25], s[24:25], 2
	s_mul_i32 s20, s20, s2
	v_cvt_f32_u32_e32 v4, s9
	v_rcp_iflag_f32_e32 v4, v4
	s_waitcnt lgkmcnt(0)
	s_add_u32 s2, s18, s24
	s_addc_u32 s15, s19, s25
	s_add_i32 s0, s21, s0
	s_add_i32 s5, s22, s20
	s_mul_i32 s0, s0, s1
	v_mul_f32_e32 v4, 0x4f7ffffe, v4
	s_add_i32 s5, s5, s0
	s_add_i32 s0, s7, s6
	v_lshl_or_b32 v1, s5, 7, v0
	s_lshl_b32 s0, s0, 3
	v_lshl_or_b32 v0, s8, 7, v0
	s_add_i32 s0, s0, s8
	v_cvt_u32_f32_e32 v4, v4
	v_ashrrev_i32_e32 v2, 31, v1
	s_ashr_i32 s1, s0, 31
	s_lshl_b64 s[0:1], s[0:1], 3
	v_lshlrev_b64 v[1:2], 2, v[1:2]
	s_add_u32 s0, s18, s0
	s_addc_u32 s1, s19, s1
	s_add_i32 s20, s6, -1
	s_load_dwordx2 s[0:1], s[0:1], 0x0
	s_sub_i32 s6, 0, s9
	v_add_co_u32 v1, vcc_lo, s16, v1
	v_add_co_ci_u32_e64 v2, null, s17, v2, vcc_lo
	global_load_dword v3, v[1:2], off
	s_waitcnt lgkmcnt(0)
	v_mov_b32_e32 v5, s1
	v_mov_b32_e32 v6, s0
.LBB18_9:                               ; =>This Inner Loop Header: Depth=1
	s_mul_hi_i32 s5, s20, s3
	s_mul_i32 s16, s20, s3
	s_cmp_lg_u64 s[4:5], 0
	s_mov_b32 s17, -1
                                        ; implicit-def: $sgpr0_sgpr1
	s_cbranch_scc0 .LBB18_11
; %bb.10:                               ;   in Loop: Header=BB18_9 Depth=1
	s_add_u32 s0, s9, 0
	s_addc_u32 s1, 0, 0
	s_xor_b64 s[0:1], s[0:1], 0
	v_cvt_f32_u32_e32 v7, s0
	v_cvt_f32_u32_e32 v8, s1
	s_sub_u32 s22, 0, s0
	s_subb_u32 s23, 0, s1
	v_fmac_f32_e32 v7, 0x4f800000, v8
	v_rcp_f32_e32 v7, v7
	v_mul_f32_e32 v7, 0x5f7ffffc, v7
	v_mul_f32_e32 v8, 0x2f800000, v7
	v_trunc_f32_e32 v8, v8
	v_fmac_f32_e32 v7, 0xcf800000, v8
	v_cvt_u32_f32_e32 v8, v8
	v_cvt_u32_f32_e32 v7, v7
	v_readfirstlane_b32 s17, v8
	v_readfirstlane_b32 s21, v7
	s_mul_i32 s24, s22, s17
	s_mul_hi_u32 s26, s22, s21
	s_mul_i32 s25, s23, s21
	s_add_i32 s24, s26, s24
	s_mul_i32 s27, s22, s21
	s_add_i32 s24, s24, s25
	s_mul_hi_u32 s26, s21, s27
	s_mul_i32 s29, s21, s24
	s_mul_hi_u32 s28, s17, s27
	s_mul_i32 s25, s17, s27
	s_mul_hi_u32 s27, s21, s24
	s_add_u32 s26, s26, s29
	s_addc_u32 s27, 0, s27
	s_mul_hi_u32 s30, s17, s24
	s_add_u32 s25, s26, s25
	s_mul_i32 s24, s17, s24
	s_addc_u32 s25, s27, s28
	s_addc_u32 s26, s30, 0
	s_add_u32 s24, s25, s24
	s_addc_u32 s25, 0, s26
	s_add_u32 s21, s21, s24
	s_cselect_b32 s24, -1, 0
	s_mul_hi_u32 s26, s22, s21
	s_cmp_lg_u32 s24, 0
	s_mul_i32 s24, s22, s21
	s_addc_u32 s17, s17, s25
	s_mul_i32 s23, s23, s21
	s_mul_i32 s22, s22, s17
	s_mul_hi_u32 s25, s21, s24
	s_add_i32 s22, s26, s22
	s_mul_hi_u32 s26, s17, s24
	s_add_i32 s22, s22, s23
	s_mul_i32 s23, s17, s24
	s_mul_i32 s28, s21, s22
	s_mul_hi_u32 s27, s21, s22
	s_add_u32 s25, s25, s28
	s_addc_u32 s27, 0, s27
	s_mul_hi_u32 s24, s17, s22
	s_add_u32 s23, s25, s23
	s_mul_i32 s22, s17, s22
	s_addc_u32 s23, s27, s26
	s_addc_u32 s24, s24, 0
	s_add_u32 s22, s23, s22
	s_addc_u32 s23, 0, s24
	s_add_u32 s21, s21, s22
	s_cselect_b32 s22, -1, 0
	s_cmp_lg_u32 s22, 0
	s_addc_u32 s17, s17, s23
	s_ashr_i32 s22, s5, 31
	s_add_u32 s24, s16, s22
	s_mov_b32 s23, s22
	s_addc_u32 s25, s5, s22
	s_xor_b64 s[24:25], s[24:25], s[22:23]
	s_mul_i32 s26, s24, s17
	s_mul_hi_u32 s27, s24, s21
	s_mul_hi_u32 s5, s24, s17
	;; [unrolled: 1-line block ×3, first 2 shown]
	s_mul_i32 s21, s25, s21
	s_add_u32 s26, s27, s26
	s_addc_u32 s5, 0, s5
	s_mul_hi_u32 s28, s25, s17
	s_add_u32 s21, s26, s21
	s_mul_i32 s17, s25, s17
	s_addc_u32 s5, s5, s29
	s_addc_u32 s21, s28, 0
	s_add_u32 s5, s5, s17
	s_addc_u32 s17, 0, s21
	s_mul_hi_u32 s21, s0, s5
	s_mul_i32 s26, s0, s17
	s_mul_i32 s27, s1, s5
	s_add_i32 s21, s21, s26
	s_mul_i32 s26, s0, s5
	s_add_i32 s21, s21, s27
	s_sub_i32 s27, s25, s21
	s_sub_u32 s24, s24, s26
	s_cselect_b32 s26, -1, 0
	s_cmp_lg_u32 s26, 0
	s_subb_u32 s27, s27, s1
	s_sub_u32 s28, s24, s0
	s_cselect_b32 s29, -1, 0
	s_cmp_lg_u32 s29, 0
	s_subb_u32 s27, s27, 0
	s_cmp_ge_u32 s27, s1
	s_cselect_b32 s29, -1, 0
	s_cmp_ge_u32 s28, s0
	s_cselect_b32 s28, -1, 0
	s_cmp_eq_u32 s27, s1
	s_cselect_b32 s27, s28, s29
	s_add_u32 s28, s5, 1
	s_addc_u32 s29, s17, 0
	s_add_u32 s30, s5, 2
	s_addc_u32 s31, s17, 0
	s_cmp_lg_u32 s27, 0
	s_cselect_b32 s27, s30, s28
	s_cselect_b32 s28, s31, s29
	s_cmp_lg_u32 s26, 0
	s_subb_u32 s21, s25, s21
	s_cmp_ge_u32 s21, s1
	s_cselect_b32 s25, -1, 0
	s_cmp_ge_u32 s24, s0
	s_cselect_b32 s0, -1, 0
	s_cmp_eq_u32 s21, s1
	s_cselect_b32 s0, s0, s25
	s_cmp_lg_u32 s0, 0
	s_cselect_b32 s1, s28, s17
	s_cselect_b32 s0, s27, s5
	s_xor_b64 s[22:23], s[22:23], 0
	s_mov_b32 s17, 0
	s_xor_b64 s[0:1], s[0:1], s[22:23]
	s_sub_u32 s0, s0, s22
.LBB18_11:                              ;   in Loop: Header=BB18_9 Depth=1
	s_andn2_b32 vcc_lo, exec_lo, s17
	s_cbranch_vccnz .LBB18_13
; %bb.12:                               ;   in Loop: Header=BB18_9 Depth=1
	v_readfirstlane_b32 s0, v4
	s_mul_i32 s1, s6, s0
	s_mul_hi_u32 s1, s0, s1
	s_add_i32 s0, s0, s1
	s_mul_hi_u32 s0, s16, s0
	s_mul_i32 s1, s0, s9
	s_add_i32 s5, s0, 1
	s_sub_i32 s1, s16, s1
	s_sub_i32 s16, s1, s9
	s_cmp_ge_u32 s1, s9
	s_cselect_b32 s0, s5, s0
	s_cselect_b32 s1, s16, s1
	s_add_i32 s5, s0, 1
	s_cmp_ge_u32 s1, s9
	s_cselect_b32 s0, s5, s0
.LBB18_13:                              ;   in Loop: Header=BB18_9 Depth=1
	s_cmp_lg_u32 s10, s0
	s_mov_b32 s16, -1
                                        ; implicit-def: $sgpr5
                                        ; implicit-def: $vgpr8
                                        ; implicit-def: $vgpr7
                                        ; implicit-def: $vgpr9
                                        ; implicit-def: $sgpr1
                                        ; implicit-def: $sgpr21
	s_cbranch_scc0 .LBB18_18
; %bb.14:                               ;   in Loop: Header=BB18_9 Depth=1
	s_add_i32 s22, s20, s7
	s_mov_b32 s17, s4
	s_add_i32 s1, s22, s9
	s_mov_b32 s21, s10
	s_lshl_b32 s1, s1, 3
	s_add_i32 s16, s1, s8
	s_mul_hi_u32 s1, s0, s12
	s_lshl_b64 s[16:17], s[16:17], 3
	s_add_u32 s16, s18, s16
	s_addc_u32 s17, s19, s17
	s_add_i32 s1, s1, s0
	s_lshr_b32 s1, s1, s13
	s_mul_i32 s5, s1, s14
	s_cmp_eq_u32 s5, s0
	s_cselect_b32 s5, -1, 0
	s_cmp_lt_u32 s1, s11
	s_cselect_b32 s1, -1, 0
	s_or_b32 s1, s1, s5
	s_mov_b32 s5, -1
	s_and_b32 vcc_lo, exec_lo, s1
	s_mov_b32 s1, s20
	s_cbranch_vccnz .LBB18_16
; %bb.15:                               ;   in Loop: Header=BB18_9 Depth=1
	s_add_i32 s1, s20, -1
	s_mov_b32 s5, 0
	s_mov_b32 s21, s0
.LBB18_16:                              ;   in Loop: Header=BB18_9 Depth=1
	v_lshl_add_u32 v7, s22, 10, v0
	s_load_dwordx2 s[16:17], s[16:17], 0x0
	v_ashrrev_i32_e32 v8, 31, v7
	v_lshlrev_b64 v[7:8], 2, v[7:8]
	v_add_co_u32 v7, vcc_lo, s2, v7
	v_add_co_ci_u32_e64 v8, null, s15, v8, vcc_lo
	s_waitcnt lgkmcnt(0)
	v_max_f32_e64 v9, s16, s16
	global_load_dword v8, v[7:8], off
	v_max_f32_e32 v7, v6, v6
	v_max_f32_e32 v7, v7, v9
	v_sub_f32_e32 v9, s16, v7
	v_sub_f32_e32 v10, v6, v7
	v_mul_f32_e32 v11, 0x3fb8aa3b, v9
	v_mul_f32_e32 v12, 0x3fb8aa3b, v10
	v_cmp_ngt_f32_e32 vcc_lo, 0xc2ce8ed0, v9
	v_fma_f32 v13, 0x3fb8aa3b, v9, -v11
	v_rndne_f32_e32 v14, v11
	v_fma_f32 v15, 0x3fb8aa3b, v10, -v12
	v_rndne_f32_e32 v16, v12
	v_fmac_f32_e32 v13, 0x32a5705f, v9
	v_sub_f32_e32 v11, v11, v14
	v_fmac_f32_e32 v15, 0x32a5705f, v10
	v_sub_f32_e32 v12, v12, v16
	v_add_f32_e32 v11, v11, v13
	v_cvt_i32_f32_e32 v13, v14
	v_add_f32_e32 v12, v12, v15
	v_cvt_i32_f32_e32 v14, v16
	v_exp_f32_e32 v11, v11
	v_exp_f32_e32 v12, v12
	v_ldexp_f32 v11, v11, v13
	v_ldexp_f32 v12, v12, v14
	v_cndmask_b32_e32 v11, 0, v11, vcc_lo
	v_cmp_ngt_f32_e32 vcc_lo, 0xc2ce8ed0, v10
	v_cndmask_b32_e32 v12, 0, v12, vcc_lo
	v_cmp_nlt_f32_e32 vcc_lo, 0x42b17218, v9
	v_cndmask_b32_e32 v11, 0x7f800000, v11, vcc_lo
	v_cmp_nlt_f32_e32 vcc_lo, 0x42b17218, v10
	v_cndmask_b32_e32 v12, 0x7f800000, v12, vcc_lo
	v_cmp_le_f32_e32 vcc_lo, 0xc1a00000, v9
	v_cndmask_b32_e32 v9, 0, v11, vcc_lo
	v_cmp_le_f32_e32 vcc_lo, 0xc1a00000, v10
	v_cndmask_b32_e32 v10, 0, v12, vcc_lo
	s_waitcnt vmcnt(0)
	v_mul_f32_e32 v8, v8, v9
	v_mul_f32_e32 v9, s17, v9
	v_fmac_f32_e32 v8, v3, v10
	v_fmac_f32_e32 v9, v5, v10
	s_cbranch_execz .LBB18_19
.LBB18_17:                              ;   in Loop: Header=BB18_9 Depth=1
	s_andn2_b32 vcc_lo, exec_lo, s5
	s_cbranch_vccnz .LBB18_20
	s_branch .LBB18_23
.LBB18_18:                              ;   in Loop: Header=BB18_9 Depth=1
	s_andn2_b32 vcc_lo, exec_lo, s16
	s_cbranch_vccnz .LBB18_17
.LBB18_19:                              ;   in Loop: Header=BB18_9 Depth=1
	v_mov_b32_e32 v9, v5
	v_mov_b32_e32 v7, v6
	s_waitcnt vmcnt(0)
	v_mov_b32_e32 v8, v3
	s_add_i32 s1, s20, -1
	s_mov_b32 s21, s10
	s_cbranch_execz .LBB18_23
.LBB18_20:                              ;   in Loop: Header=BB18_9 Depth=1
	v_mov_b32_e32 v5, v9
	v_mov_b32_e32 v6, v7
	s_waitcnt vmcnt(0)
	v_mov_b32_e32 v3, v8
	s_mov_b32 s10, s21
	s_mov_b32 s20, s1
	s_branch .LBB18_9
.LBB18_21:
                                        ; implicit-def: $sgpr10_sgpr11
	s_load_dwordx4 s[12:15], s[4:5], 0x44
	s_branch .LBB18_2
.LBB18_22:
                                        ; implicit-def: $sgpr18_sgpr19
	s_branch .LBB18_5
.LBB18_23:
	v_div_scale_f32 v0, null, v9, v9, v8
	s_waitcnt vmcnt(0)
	v_rcp_f32_e32 v3, v0
	v_fma_f32 v4, -v0, v3, 1.0
	v_fmac_f32_e32 v3, v4, v3
	v_div_scale_f32 v4, vcc_lo, v8, v9, v8
	v_mul_f32_e32 v5, v4, v3
	v_fma_f32 v6, -v0, v5, v4
	v_fmac_f32_e32 v5, v6, v3
	v_fma_f32 v0, -v0, v5, v4
	v_div_fmas_f32 v0, v0, v3, v5
	v_div_fixup_f32 v0, v0, v9, v8
	global_store_dword v[1:2], v0, off
.LBB18_24:
	s_endpgm
	.section	.rodata,"a",@progbits
	.p2align	6, 0x0
	.amdhsa_kernel _ZL33flash_attn_stream_k_fixup_generalILi128ELi1ELi8EEvPfPK15HIP_vector_typeIfLj2EEiiiiS1_IjLj3EES5_S5_S5_
		.amdhsa_group_segment_fixed_size 0
		.amdhsa_private_segment_fixed_size 0
		.amdhsa_kernarg_size 336
		.amdhsa_user_sgpr_count 6
		.amdhsa_user_sgpr_private_segment_buffer 1
		.amdhsa_user_sgpr_dispatch_ptr 0
		.amdhsa_user_sgpr_queue_ptr 0
		.amdhsa_user_sgpr_kernarg_segment_ptr 1
		.amdhsa_user_sgpr_dispatch_id 0
		.amdhsa_user_sgpr_flat_scratch_init 0
		.amdhsa_user_sgpr_private_segment_size 0
		.amdhsa_wavefront_size32 1
		.amdhsa_uses_dynamic_stack 0
		.amdhsa_system_sgpr_private_segment_wavefront_offset 0
		.amdhsa_system_sgpr_workgroup_id_x 1
		.amdhsa_system_sgpr_workgroup_id_y 1
		.amdhsa_system_sgpr_workgroup_id_z 1
		.amdhsa_system_sgpr_workgroup_info 0
		.amdhsa_system_vgpr_workitem_id 0
		.amdhsa_next_free_vgpr 17
		.amdhsa_next_free_sgpr 32
		.amdhsa_reserve_vcc 1
		.amdhsa_reserve_flat_scratch 0
		.amdhsa_float_round_mode_32 0
		.amdhsa_float_round_mode_16_64 0
		.amdhsa_float_denorm_mode_32 3
		.amdhsa_float_denorm_mode_16_64 3
		.amdhsa_dx10_clamp 1
		.amdhsa_ieee_mode 1
		.amdhsa_fp16_overflow 0
		.amdhsa_workgroup_processor_mode 1
		.amdhsa_memory_ordered 1
		.amdhsa_forward_progress 1
		.amdhsa_shared_vgpr_count 0
		.amdhsa_exception_fp_ieee_invalid_op 0
		.amdhsa_exception_fp_denorm_src 0
		.amdhsa_exception_fp_ieee_div_zero 0
		.amdhsa_exception_fp_ieee_overflow 0
		.amdhsa_exception_fp_ieee_underflow 0
		.amdhsa_exception_fp_ieee_inexact 0
		.amdhsa_exception_int_div_zero 0
	.end_amdhsa_kernel
	.section	.text._ZL33flash_attn_stream_k_fixup_generalILi128ELi1ELi8EEvPfPK15HIP_vector_typeIfLj2EEiiiiS1_IjLj3EES5_S5_S5_,"axG",@progbits,_ZL33flash_attn_stream_k_fixup_generalILi128ELi1ELi8EEvPfPK15HIP_vector_typeIfLj2EEiiiiS1_IjLj3EES5_S5_S5_,comdat
.Lfunc_end18:
	.size	_ZL33flash_attn_stream_k_fixup_generalILi128ELi1ELi8EEvPfPK15HIP_vector_typeIfLj2EEiiiiS1_IjLj3EES5_S5_S5_, .Lfunc_end18-_ZL33flash_attn_stream_k_fixup_generalILi128ELi1ELi8EEvPfPK15HIP_vector_typeIfLj2EEiiiiS1_IjLj3EES5_S5_S5_
                                        ; -- End function
	.set _ZL33flash_attn_stream_k_fixup_generalILi128ELi1ELi8EEvPfPK15HIP_vector_typeIfLj2EEiiiiS1_IjLj3EES5_S5_S5_.num_vgpr, 17
	.set _ZL33flash_attn_stream_k_fixup_generalILi128ELi1ELi8EEvPfPK15HIP_vector_typeIfLj2EEiiiiS1_IjLj3EES5_S5_S5_.num_agpr, 0
	.set _ZL33flash_attn_stream_k_fixup_generalILi128ELi1ELi8EEvPfPK15HIP_vector_typeIfLj2EEiiiiS1_IjLj3EES5_S5_S5_.numbered_sgpr, 32
	.set _ZL33flash_attn_stream_k_fixup_generalILi128ELi1ELi8EEvPfPK15HIP_vector_typeIfLj2EEiiiiS1_IjLj3EES5_S5_S5_.num_named_barrier, 0
	.set _ZL33flash_attn_stream_k_fixup_generalILi128ELi1ELi8EEvPfPK15HIP_vector_typeIfLj2EEiiiiS1_IjLj3EES5_S5_S5_.private_seg_size, 0
	.set _ZL33flash_attn_stream_k_fixup_generalILi128ELi1ELi8EEvPfPK15HIP_vector_typeIfLj2EEiiiiS1_IjLj3EES5_S5_S5_.uses_vcc, 1
	.set _ZL33flash_attn_stream_k_fixup_generalILi128ELi1ELi8EEvPfPK15HIP_vector_typeIfLj2EEiiiiS1_IjLj3EES5_S5_S5_.uses_flat_scratch, 0
	.set _ZL33flash_attn_stream_k_fixup_generalILi128ELi1ELi8EEvPfPK15HIP_vector_typeIfLj2EEiiiiS1_IjLj3EES5_S5_S5_.has_dyn_sized_stack, 0
	.set _ZL33flash_attn_stream_k_fixup_generalILi128ELi1ELi8EEvPfPK15HIP_vector_typeIfLj2EEiiiiS1_IjLj3EES5_S5_S5_.has_recursion, 0
	.set _ZL33flash_attn_stream_k_fixup_generalILi128ELi1ELi8EEvPfPK15HIP_vector_typeIfLj2EEiiiiS1_IjLj3EES5_S5_S5_.has_indirect_call, 0
	.section	.AMDGPU.csdata,"",@progbits
; Kernel info:
; codeLenInByte = 2924
; TotalNumSgprs: 34
; NumVgprs: 17
; ScratchSize: 0
; MemoryBound: 0
; FloatMode: 240
; IeeeMode: 1
; LDSByteSize: 0 bytes/workgroup (compile time only)
; SGPRBlocks: 0
; VGPRBlocks: 2
; NumSGPRsForWavesPerEU: 34
; NumVGPRsForWavesPerEU: 17
; Occupancy: 16
; WaveLimiterHint : 0
; COMPUTE_PGM_RSRC2:SCRATCH_EN: 0
; COMPUTE_PGM_RSRC2:USER_SGPR: 6
; COMPUTE_PGM_RSRC2:TRAP_HANDLER: 0
; COMPUTE_PGM_RSRC2:TGID_X_EN: 1
; COMPUTE_PGM_RSRC2:TGID_Y_EN: 1
; COMPUTE_PGM_RSRC2:TGID_Z_EN: 1
; COMPUTE_PGM_RSRC2:TIDIG_COMP_CNT: 0
	.section	.text._ZL15flash_attn_tileILi192ELi128ELi2ELi16ELb1EEvPKcS1_S1_S1_S1_PKiPfP15HIP_vector_typeIfLj2EEffffjfiS5_IjLj3EEiiiiiiiiiiiliiliiiiil,"axG",@progbits,_ZL15flash_attn_tileILi192ELi128ELi2ELi16ELb1EEvPKcS1_S1_S1_S1_PKiPfP15HIP_vector_typeIfLj2EEffffjfiS5_IjLj3EEiiiiiiiiiiiliiliiiiil,comdat
	.globl	_ZL15flash_attn_tileILi192ELi128ELi2ELi16ELb1EEvPKcS1_S1_S1_S1_PKiPfP15HIP_vector_typeIfLj2EEffffjfiS5_IjLj3EEiiiiiiiiiiiliiliiiiil ; -- Begin function _ZL15flash_attn_tileILi192ELi128ELi2ELi16ELb1EEvPKcS1_S1_S1_S1_PKiPfP15HIP_vector_typeIfLj2EEffffjfiS5_IjLj3EEiiiiiiiiiiiliiliiiiil
	.p2align	8
	.type	_ZL15flash_attn_tileILi192ELi128ELi2ELi16ELb1EEvPKcS1_S1_S1_S1_PKiPfP15HIP_vector_typeIfLj2EEffffjfiS5_IjLj3EEiiiiiiiiiiiliiliiiiil,@function
_ZL15flash_attn_tileILi192ELi128ELi2ELi16ELb1EEvPKcS1_S1_S1_S1_PKiPfP15HIP_vector_typeIfLj2EEffffjfiS5_IjLj3EEiiiiiiiiiiiliiliiiiil: ; @_ZL15flash_attn_tileILi192ELi128ELi2ELi16ELb1EEvPKcS1_S1_S1_S1_PKiPfP15HIP_vector_typeIfLj2EEffffjfiS5_IjLj3EEiiiiiiiiiiiliiliiiiil
; %bb.0:
	s_clause 0x1
	s_load_dwordx4 s[0:3], s[4:5], 0x5c
	s_load_dwordx2 s[30:31], s[4:5], 0x80
	s_mov_b32 s28, s7
	s_mov_b64 s[34:35], 0
	s_waitcnt lgkmcnt(0)
	s_ashr_i32 s7, s3, 31
	s_lshr_b32 s7, s7, 28
	s_add_i32 s7, s3, s7
	s_ashr_i32 s7, s7, 4
	v_cvt_f32_u32_e32 v2, s7
	s_sub_i32 s10, 0, s7
	v_rcp_iflag_f32_e32 v2, v2
	v_mul_f32_e32 v2, 0x4f7ffffe, v2
	v_cvt_u32_f32_e32 v2, v2
	v_readfirstlane_b32 s9, v2
	s_mul_i32 s10, s10, s9
	s_mul_hi_u32 s10, s9, s10
	s_add_i32 s9, s9, s10
	s_mul_hi_u32 s9, s8, s9
	s_mul_i32 s10, s9, s7
	s_add_i32 s11, s9, 1
	s_sub_i32 s10, s8, s10
	s_sub_i32 s12, s10, s7
	s_cmp_ge_u32 s10, s7
	s_cselect_b32 s9, s11, s9
	s_cselect_b32 s10, s12, s10
	s_add_i32 s11, s9, 1
	s_cmp_ge_u32 s10, s7
	s_cselect_b32 s7, s11, s9
	s_abs_i32 s9, s31
	s_lshl_b32 s8, s8, 4
	v_cvt_f32_u32_e32 v2, s9
	s_sub_i32 s11, 0, s9
	s_mul_i32 s12, s7, s3
	s_abs_i32 s13, s3
	s_sub_i32 s29, s8, s12
	v_rcp_iflag_f32_e32 v2, v2
	v_mul_f32_e32 v2, 0x4f7ffffe, v2
	v_cvt_u32_f32_e32 v2, v2
	v_readfirstlane_b32 s10, v2
	s_mul_i32 s11, s11, s10
	s_mul_hi_u32 s11, s10, s11
	s_add_i32 s10, s10, s11
	s_mul_hi_u32 s8, s13, s10
	s_xor_b32 s10, s3, s31
	s_mul_i32 s11, s8, s9
	s_ashr_i32 s10, s10, 31
	s_sub_i32 s11, s13, s11
	s_add_i32 s12, s8, 1
	s_sub_i32 s13, s11, s9
	s_cmp_ge_u32 s11, s9
	s_cselect_b32 s8, s12, s8
	s_cselect_b32 s11, s13, s11
	s_add_i32 s12, s8, 1
	s_cmp_ge_u32 s11, s9
	s_cselect_b32 s8, s12, s8
	s_xor_b32 s8, s8, s10
	s_sub_i32 s33, s8, s10
	s_clause 0x1
	s_load_dwordx16 s[8:23], s[4:5], 0x0
	s_load_dwordx2 s[36:37], s[4:5], 0xb8
	s_abs_i32 s31, s33
	v_cvt_f32_u32_e32 v2, s31
	v_rcp_iflag_f32_e32 v2, v2
	v_mul_f32_e32 v2, 0x4f7ffffe, v2
	s_waitcnt lgkmcnt(0)
	s_cmp_eq_u64 s[14:15], 0
	v_cvt_u32_f32_e32 v2, v2
	v_readfirstlane_b32 s38, v2
	s_cbranch_scc1 .LBB19_2
; %bb.1:
	s_abs_i32 s26, s36
	s_abs_i32 s27, s7
	v_cvt_f32_u32_e32 v2, s26
	s_sub_i32 s25, 0, s26
	v_rcp_iflag_f32_e32 v2, v2
	v_mul_f32_e32 v2, 0x4f7ffffe, v2
	v_cvt_u32_f32_e32 v2, v2
	v_readfirstlane_b32 s24, v2
	s_mul_i32 s25, s25, s24
	s_mul_hi_u32 s25, s24, s25
	s_add_i32 s24, s24, s25
	s_mul_hi_u32 s34, s27, s24
	s_load_dwordx2 s[24:25], s[4:5], 0xc8
	s_mul_i32 s34, s34, s26
	s_sub_i32 s27, s27, s34
	s_ashr_i32 s34, s7, 31
	s_sub_i32 s35, s27, s26
	s_cmp_ge_u32 s27, s26
	s_cselect_b32 s27, s35, s27
	s_sub_i32 s35, s27, s26
	s_cmp_ge_u32 s27, s26
	s_cselect_b32 s26, s35, s27
	s_xor_b32 s26, s26, s34
	s_sub_i32 s26, s26, s34
	s_ashr_i32 s27, s26, 31
	s_waitcnt lgkmcnt(0)
	s_mul_hi_u32 s34, s24, s26
	s_mul_i32 s27, s24, s27
	s_mul_i32 s25, s25, s26
	s_add_i32 s27, s34, s27
	s_mul_i32 s24, s24, s26
	s_add_i32 s27, s27, s25
	s_add_u32 s34, s14, s24
	s_addc_u32 s35, s15, s27
.LBB19_2:
	v_lshrrev_b32_e32 v2, 2, v1
	s_load_dwordx4 s[24:27], s[4:5], 0x70
	v_lshlrev_b32_e32 v5, 2, v1
	v_lshlrev_b32_e32 v8, 4, v0
	;; [unrolled: 1-line block ×3, first 2 shown]
	v_lshl_add_u32 v13, s6, 1, v2
	v_mul_u32_u24_e32 v26, 0x600, v1
	v_and_b32_e32 v23, 12, v5
	v_mad_u32_u24 v12, 0x600, v1, v25
	v_mul_hi_u32 v2, s0, v13
	v_add_nc_u32_e32 v2, v13, v2
	s_waitcnt lgkmcnt(0)
	s_mul_i32 s14, s29, s25
	s_mov_b32 s0, s25
	v_lshrrev_b32_e32 v2, s1, v2
	s_mul_i32 s1, s7, s26
	s_ashr_i32 s15, s1, 31
	s_add_u32 s1, s8, s1
	v_mul_lo_u32 v2, v2, s2
	s_addc_u32 s8, s9, s15
	s_ashr_i32 s9, s14, 31
	s_add_u32 s14, s1, s14
	s_addc_u32 s15, s8, s9
	s_ashr_i32 s1, s25, 31
	s_ashr_i32 s25, s24, 31
	s_lshr_b64 s[8:9], s[24:25], 2
	v_sub_nc_u32_e32 v4, v13, v2
	v_mad_u64_u32 v[2:3], null, s8, v4, 0
	s_lshr_b32 s8, s25, 2
	v_mad_u64_u32 v[6:7], null, s8, v4, v[3:4]
	s_lshr_b64 s[8:9], s[0:1], 2
	v_mov_b32_e32 v3, v6
	v_mad_u64_u32 v[6:7], null, s8, v23, 0
	v_lshlrev_b64 v[2:3], 2, v[2:3]
	v_mad_i32_i24 v7, s1, v23, v7
	s_load_dword s1, s[4:5], 0x40
	v_add_co_u32 v9, vcc_lo, s14, v2
	v_add_co_ci_u32_e64 v10, null, s15, v3, vcc_lo
	v_lshlrev_b64 v[2:3], 2, v[6:7]
	v_add_co_u32 v6, vcc_lo, v9, v8
	v_add_co_ci_u32_e64 v7, null, 0, v10, vcc_lo
	v_add_co_u32 v2, vcc_lo, v6, v2
	v_add_co_ci_u32_e64 v3, null, v7, v3, vcc_lo
	v_cmp_gt_u32_e32 vcc_lo, 16, v0
	global_load_dwordx4 v[8:11], v[2:3], off
	s_waitcnt vmcnt(0) lgkmcnt(0)
	v_fma_mixlo_f16 v9, s1, v9, 0
	v_fma_mixlo_f16 v8, s1, v8, 0
	;; [unrolled: 1-line block ×4, first 2 shown]
	v_lshlrev_b32_e32 v9, 16, v9
	v_and_b32_e32 v8, 0xffff, v8
	v_and_b32_e32 v10, 0xffff, v10
	v_lshlrev_b32_e32 v11, 16, v11
	v_or_b32_e32 v8, v9, v8
	v_or3_b32 v9, v11, v10, 0
	v_or3_b32 v8, 0, 0, v8
	ds_write_b64 v12, v[8:9]
	s_and_saveexec_b32 s0, vcc_lo
	s_cbranch_execz .LBB19_4
; %bb.3:
	global_load_dwordx4 v[8:11], v[2:3], off offset:512
	s_waitcnt vmcnt(0)
	v_fma_mixlo_f16 v2, s1, v9, 0
	v_fma_mixlo_f16 v3, s1, v8, 0
	;; [unrolled: 1-line block ×4, first 2 shown]
	v_lshlrev_b32_e32 v2, 16, v2
	v_and_b32_e32 v3, 0xffff, v3
	v_and_b32_e32 v8, 0xffff, v8
	v_lshlrev_b32_e32 v9, 16, v9
	v_or_b32_e32 v2, v2, v3
	v_or3_b32 v3, v9, v8, 0
	v_add_nc_u32_e32 v8, v25, v26
	v_or3_b32 v2, 0, 0, v2
	ds_write_b64 v8, v[2:3] offset:256
.LBB19_4:
	s_or_b32 exec_lo, exec_lo, s0
	v_or_b32_e32 v12, 1, v5
	v_and_b32_e32 v8, 13, v12
	v_mul_u32_u24_e32 v14, 0x180, v12
	v_mad_u32_u24 v12, 0x180, v12, v25
	v_mad_u64_u32 v[2:3], null, s8, v8, 0
	v_mad_u64_u32 v[8:9], null, s9, v8, v[3:4]
	v_mov_b32_e32 v3, v8
	v_lshlrev_b64 v[2:3], 2, v[2:3]
	v_add_co_u32 v2, s0, v6, v2
	v_add_co_ci_u32_e64 v3, null, v7, v3, s0
	global_load_dwordx4 v[8:11], v[2:3], off
	s_waitcnt vmcnt(0)
	v_fma_mixlo_f16 v9, s1, v9, 0
	v_fma_mixlo_f16 v8, s1, v8, 0
	;; [unrolled: 1-line block ×4, first 2 shown]
	v_lshlrev_b32_e32 v9, 16, v9
	v_and_b32_e32 v8, 0xffff, v8
	v_and_b32_e32 v10, 0xffff, v10
	v_lshlrev_b32_e32 v11, 16, v11
	v_or_b32_e32 v8, v9, v8
	v_or3_b32 v10, v11, v10, 0
	v_or3_b32 v9, 0, 0, v8
	v_add_nc_u32_e32 v8, v25, v14
	ds_write_b64 v12, v[9:10]
	s_and_saveexec_b32 s0, vcc_lo
	s_cbranch_execz .LBB19_6
; %bb.5:
	global_load_dwordx4 v[9:12], v[2:3], off offset:512
	s_waitcnt vmcnt(0)
	v_fma_mixlo_f16 v2, s1, v10, 0
	v_fma_mixlo_f16 v3, s1, v9, 0
	;; [unrolled: 1-line block ×4, first 2 shown]
	v_lshlrev_b32_e32 v2, 16, v2
	v_and_b32_e32 v3, 0xffff, v3
	v_and_b32_e32 v9, 0xffff, v9
	v_lshlrev_b32_e32 v10, 16, v10
	v_or_b32_e32 v2, v2, v3
	v_or3_b32 v3, v10, v9, 0
	v_or3_b32 v2, 0, 0, v2
	ds_write_b64 v8, v[2:3] offset:256
.LBB19_6:
	s_or_b32 exec_lo, exec_lo, s0
	v_or_b32_e32 v2, 2, v5
	v_and_b32_e32 v9, 14, v2
	v_mad_u64_u32 v[2:3], null, s8, v9, 0
	v_mad_u64_u32 v[9:10], null, s9, v9, v[3:4]
	v_mov_b32_e32 v3, v9
	v_lshlrev_b64 v[2:3], 2, v[2:3]
	v_add_co_u32 v2, s0, v6, v2
	v_add_co_ci_u32_e64 v3, null, v7, v3, s0
	global_load_dwordx4 v[9:12], v[2:3], off
	s_waitcnt vmcnt(0)
	v_fma_mixlo_f16 v10, s1, v10, 0
	v_fma_mixlo_f16 v9, s1, v9, 0
	;; [unrolled: 1-line block ×4, first 2 shown]
	v_lshlrev_b32_e32 v10, 16, v10
	v_and_b32_e32 v9, 0xffff, v9
	v_and_b32_e32 v11, 0xffff, v11
	v_lshlrev_b32_e32 v12, 16, v12
	v_or_b32_e32 v9, v10, v9
	v_or3_b32 v10, v12, v11, 0
	v_or3_b32 v9, 0, 0, v9
	ds_write_b64 v8, v[9:10] offset:384
	s_and_saveexec_b32 s0, vcc_lo
	s_cbranch_execz .LBB19_8
; %bb.7:
	global_load_dwordx4 v[9:12], v[2:3], off offset:512
	s_waitcnt vmcnt(0)
	v_fma_mixlo_f16 v2, s1, v10, 0
	v_fma_mixlo_f16 v3, s1, v9, 0
	;; [unrolled: 1-line block ×4, first 2 shown]
	v_lshlrev_b32_e32 v2, 16, v2
	v_and_b32_e32 v3, 0xffff, v3
	v_and_b32_e32 v9, 0xffff, v9
	v_lshlrev_b32_e32 v10, 16, v10
	v_or_b32_e32 v2, v2, v3
	v_or3_b32 v3, v10, v9, 0
	v_or3_b32 v2, 0, 0, v2
	ds_write_b64 v8, v[2:3] offset:640
.LBB19_8:
	s_or_b32 exec_lo, exec_lo, s0
	v_or_b32_e32 v2, 3, v5
	v_and_b32_e32 v9, 15, v2
	v_mad_u64_u32 v[2:3], null, s8, v9, 0
	v_mad_u64_u32 v[9:10], null, s9, v9, v[3:4]
	v_mov_b32_e32 v3, v9
	v_lshlrev_b64 v[2:3], 2, v[2:3]
	v_add_co_u32 v2, s0, v6, v2
	v_add_co_ci_u32_e64 v3, null, v7, v3, s0
	global_load_dwordx4 v[9:12], v[2:3], off
	s_waitcnt vmcnt(0)
	v_fma_mixlo_f16 v6, s1, v10, 0
	v_fma_mixlo_f16 v7, s1, v9, 0
	;; [unrolled: 1-line block ×4, first 2 shown]
	v_lshlrev_b32_e32 v6, 16, v6
	v_and_b32_e32 v7, 0xffff, v7
	v_and_b32_e32 v9, 0xffff, v9
	v_lshlrev_b32_e32 v10, 16, v10
	v_or_b32_e32 v6, v6, v7
	v_or3_b32 v7, v10, v9, 0
	v_or3_b32 v6, 0, 0, v6
	ds_write_b64 v8, v[6:7] offset:768
	s_and_saveexec_b32 s0, vcc_lo
	s_cbranch_execz .LBB19_10
; %bb.9:
	global_load_dwordx4 v[9:12], v[2:3], off offset:512
	s_waitcnt vmcnt(0)
	v_fma_mixlo_f16 v2, s1, v10, 0
	v_fma_mixlo_f16 v3, s1, v9, 0
	;; [unrolled: 1-line block ×4, first 2 shown]
	v_lshlrev_b32_e32 v2, 16, v2
	v_and_b32_e32 v3, 0xffff, v3
	v_and_b32_e32 v6, 0xffff, v6
	v_lshlrev_b32_e32 v7, 16, v7
	v_or_b32_e32 v2, v2, v3
	v_or3_b32 v3, v7, v6, 0
	v_or3_b32 v2, 0, 0, v2
	ds_write_b64 v8, v[2:3] offset:1024
.LBB19_10:
	s_or_b32 exec_lo, exec_lo, s0
	s_cmp_eq_u64 s[18:19], 0
	s_waitcnt lgkmcnt(0)
	s_barrier
	buffer_gl0_inv
	s_cbranch_scc1 .LBB19_12
; %bb.11:
	s_load_dword s0, s[4:5], 0xd0
	s_mov_b32 s1, 0
	s_waitcnt lgkmcnt(0)
	s_mul_i32 s0, s0, s7
	s_add_i32 s0, s0, s6
	s_lshl_b64 s[0:1], s[0:1], 2
	s_add_u32 s0, s18, s0
	s_addc_u32 s1, s19, s1
	s_load_dword s30, s[0:1], 0x0
.LBB19_12:
	v_mbcnt_lo_u32_b32 v27, -1, 0
	s_lshl_b32 s6, s28, 6
	s_waitcnt lgkmcnt(0)
	s_cmp_lt_i32 s6, s30
	s_cbranch_scc1 .LBB19_15
; %bb.13:
	v_mbcnt_lo_u32_b32 v8, -1, 0
	v_mov_b32_e32 v28, 32
	v_xor_b32_e32 v60, 16, v8
	v_xor_b32_e32 v59, 8, v8
	;; [unrolled: 1-line block ×5, first 2 shown]
	v_lshlrev_b32_e32 v24, 2, v0
	s_cbranch_execz .LBB19_16
; %bb.14:
	v_mov_b32_e32 v40, 0
	v_mov_b32_e32 v6, 0
	;; [unrolled: 1-line block ×16, first 2 shown]
	s_branch .LBB19_52
.LBB19_15:
                                        ; implicit-def: $vgpr8
                                        ; implicit-def: $vgpr28
                                        ; implicit-def: $vgpr60
                                        ; implicit-def: $vgpr59
                                        ; implicit-def: $vgpr58
                                        ; implicit-def: $vgpr57
                                        ; implicit-def: $vgpr56
	v_lshlrev_b32_e32 v24, 2, v0
.LBB19_16:
	s_clause 0x1
	s_load_dwordx4 s[24:27], s[4:5], 0x98
	s_load_dwordx2 s[0:1], s[4:5], 0x8c
	s_sub_i32 s8, 0, s31
	s_abs_i32 s14, s29
	s_mul_i32 s8, s8, s38
	s_ashr_i32 s36, s37, 1
	s_mul_hi_u32 s8, s38, s8
	s_ashr_i32 s15, s29, 31
	s_add_i32 s38, s38, s8
	s_ashr_i32 s33, s33, 31
	s_mul_hi_u32 s37, s14, s38
	s_ashr_i32 s38, s7, 31
	s_load_dwordx2 s[18:19], s[4:5], 0xa8
	s_mul_i32 s39, s37, s31
	v_lshrrev_b32_e32 v2, 3, v0
	v_lshrrev_b32_e32 v6, 4, v0
	v_and_b32_e32 v11, 28, v24
	v_and_b32_e32 v12, 60, v24
	v_mad_u64_u32 v[14:15], null, v4, s36, v[0:1]
	s_waitcnt lgkmcnt(0)
	s_ashr_i32 s8, s26, 2
	s_ashr_i32 s9, s0, 2
	s_mul_hi_u32 s0, s24, s7
	s_mul_i32 s26, s24, s38
	s_mul_i32 s25, s25, s7
	s_add_i32 s0, s0, s26
	s_mul_i32 s24, s24, s7
	s_add_i32 s0, s0, s25
	s_add_u32 s24, s10, s24
	s_addc_u32 s0, s11, s0
	s_sub_i32 s14, s14, s39
	s_xor_b32 s11, s15, s33
	s_add_i32 s15, s37, 1
	s_sub_i32 s25, s14, s31
	s_cmp_ge_u32 s14, s31
	v_add_nc_u32_e32 v3, v2, v5
	v_lshl_add_u32 v9, v1, 1, v6
	s_cselect_b32 s15, s15, s37
	s_cselect_b32 s14, s25, s14
	s_add_i32 s25, s15, 1
	s_cmp_ge_u32 s14, s31
	v_mul_lo_u32 v2, s9, v3
	v_mul_lo_u32 v7, s8, v9
	s_cselect_b32 s14, s25, s15
	v_lshlrev_b32_e32 v5, 2, v11
	s_xor_b32 s14, s14, s11
	v_lshlrev_b32_e32 v10, 2, v12
	s_load_dword s10, s[4:5], 0x54
	s_sub_i32 s25, s14, s11
	v_mad_u32_u24 v8, 0x90, v3, v5
	s_mul_i32 s1, s25, s1
	v_lshl_add_u32 v5, s9, 5, v2
	v_lshl_or_b32 v10, v9, 8, v10
	v_lshl_add_u32 v9, s8, 4, v7
	s_mul_hi_u32 s15, s18, s7
	s_mul_i32 s26, s18, s38
	s_ashr_i32 s14, s1, 31
	s_add_u32 s11, s24, s1
	s_mul_i32 s19, s19, s7
	s_addc_u32 s14, s0, s14
	s_add_i32 s0, s15, s26
	s_mul_i32 s1, s18, s7
	s_add_i32 s0, s0, s19
	s_mul_i32 s25, s25, s27
	v_add_nc_u32_e32 v29, 0x3000, v8
	v_ashrrev_i32_e32 v3, 31, v2
	v_add_nc_u32_e32 v30, 0x4200, v8
	v_ashrrev_i32_e32 v6, 31, v5
	;; [unrolled: 2-line block ×4, first 2 shown]
	s_add_u32 s1, s12, s1
	s_addc_u32 s0, s13, s0
	s_ashr_i32 s13, s25, 31
	s_add_u32 s12, s1, s25
	s_addc_u32 s13, s0, s13
	s_movk_i32 s0, 0x3000
	v_lshlrev_b64 v[15:16], 2, v[2:3]
	v_lshlrev_b64 v[17:18], 2, v[5:6]
	;; [unrolled: 1-line block ×4, first 2 shown]
	v_mov_b32_e32 v41, 0
	v_mad_u32_u24 v31, 0x90, v0, s0
	v_lshl_add_u32 v32, v1, 9, 0x5400
	v_mov_b32_e32 v51, 0xfeffffff
	v_lshlrev_b32_e32 v35, 2, v11
	v_mov_b32_e32 v28, 32
	v_lshlrev_b32_e32 v36, 2, v12
	v_mov_b32_e32 v37, 0x10001
	v_mov_b32_e32 v42, 0
	;; [unrolled: 1-line block ×15, first 2 shown]
	s_add_u32 s0, s4, 0xd0
	s_addc_u32 s1, s5, 0
	s_mov_b32 s15, 0xbbbac73d
.LBB19_17:                              ; =>This Inner Loop Header: Depth=1
	s_mul_hi_i32 s19, s6, s9
	s_mul_i32 s18, s6, s9
	v_mov_b32_e32 v54, 0
	s_lshl_b64 s[18:19], s[18:19], 2
	v_mov_b32_e32 v55, 0
	s_add_u32 s18, s11, s18
	s_addc_u32 s19, s14, s19
	v_add_co_u32 v1, vcc_lo, s18, v15
	v_add_co_ci_u32_e64 v2, null, s19, v16, vcc_lo
	v_add_co_u32 v3, vcc_lo, s18, v17
	v_add_co_ci_u32_e64 v4, null, s19, v18, vcc_lo
	;; [unrolled: 2-line block ×4, first 2 shown]
	s_clause 0x1
	global_load_dwordx4 v[5:8], v[1:2], off
	global_load_dwordx4 v[9:12], v[3:4], off
	s_waitcnt vmcnt(1)
	ds_write_b128 v29, v[5:8]
	s_waitcnt vmcnt(0)
	ds_write_b128 v30, v[9:12]
	s_waitcnt lgkmcnt(0)
	s_barrier
	buffer_gl0_inv
	ds_read_b128 v[56:59], v31
	ds_read_b128 v[60:63], v26
	ds_read_b128 v[64:67], v26 offset:384
	ds_read_b128 v[68:71], v26 offset:768
	v_mov_b32_e32 v9, 0
	ds_read_b128 v[72:75], v26 offset:1152
	ds_read_b128 v[76:79], v31 offset:4608
	v_mov_b32_e32 v7, 0
	v_mov_b32_e32 v5, 0
	;; [unrolled: 1-line block ×4, first 2 shown]
	s_waitcnt lgkmcnt(4)
	;;#ASMSTART
	v_dot2_f32_f16 v9, v56, v60, v9
	;;#ASMEND
	;;#ASMSTART
	v_dot2_f32_f16 v9, v57, v61, v9
	;;#ASMEND
	;;#ASMSTART
	v_dot2_f32_f16 v9, v58, v62, v9
	;;#ASMEND
	;;#ASMSTART
	v_dot2_f32_f16 v9, v59, v63, v9
	;;#ASMEND
	s_waitcnt lgkmcnt(3)
	;;#ASMSTART
	v_dot2_f32_f16 v7, v56, v64, v7
	;;#ASMEND
	;;#ASMSTART
	v_dot2_f32_f16 v7, v57, v65, v7
	;;#ASMEND
	;;#ASMSTART
	v_dot2_f32_f16 v7, v58, v66, v7
	;;#ASMEND
	;;#ASMSTART
	v_dot2_f32_f16 v7, v59, v67, v7
	;;#ASMEND
	;; [unrolled: 13-line block ×5, first 2 shown]
	;;#ASMSTART
	v_dot2_f32_f16 v8, v76, v64, v8
	;;#ASMEND
	;;#ASMSTART
	v_dot2_f32_f16 v8, v77, v65, v8
	;;#ASMEND
	v_mov_b32_e32 v6, 0
	;;#ASMSTART
	v_dot2_f32_f16 v8, v78, v66, v8
	;;#ASMEND
	;;#ASMSTART
	v_dot2_f32_f16 v8, v79, v67, v8
	;;#ASMEND
	;; [unrolled: 3-line block ×10, first 2 shown]
	ds_read_b128 v[56:59], v31 offset:16
	ds_read_b128 v[60:63], v26 offset:16
	;; [unrolled: 1-line block ×6, first 2 shown]
	s_waitcnt lgkmcnt(4)
	;;#ASMSTART
	v_dot2_f32_f16 v9, v56, v60, v9
	;;#ASMEND
	;;#ASMSTART
	v_dot2_f32_f16 v9, v57, v61, v9
	;;#ASMEND
	;;#ASMSTART
	v_dot2_f32_f16 v9, v58, v62, v9
	;;#ASMEND
	;;#ASMSTART
	v_dot2_f32_f16 v9, v59, v63, v9
	;;#ASMEND
	s_waitcnt lgkmcnt(3)
	;;#ASMSTART
	v_dot2_f32_f16 v7, v56, v64, v7
	;;#ASMEND
	;;#ASMSTART
	v_dot2_f32_f16 v7, v57, v65, v7
	;;#ASMEND
	;;#ASMSTART
	v_dot2_f32_f16 v7, v58, v66, v7
	;;#ASMEND
	;;#ASMSTART
	v_dot2_f32_f16 v7, v59, v67, v7
	;;#ASMEND
	;; [unrolled: 13-line block ×5, first 2 shown]
	;;#ASMSTART
	v_dot2_f32_f16 v8, v76, v64, v8
	;;#ASMEND
	;;#ASMSTART
	v_dot2_f32_f16 v8, v77, v65, v8
	;;#ASMEND
	;; [unrolled: 3-line block ×12, first 2 shown]
	ds_read_b128 v[56:59], v31 offset:32
	ds_read_b128 v[60:63], v26 offset:32
	;; [unrolled: 1-line block ×6, first 2 shown]
	s_waitcnt lgkmcnt(4)
	;;#ASMSTART
	v_dot2_f32_f16 v9, v56, v60, v9
	;;#ASMEND
	;;#ASMSTART
	v_dot2_f32_f16 v9, v57, v61, v9
	;;#ASMEND
	;;#ASMSTART
	v_dot2_f32_f16 v9, v58, v62, v9
	;;#ASMEND
	;;#ASMSTART
	v_dot2_f32_f16 v9, v59, v63, v9
	;;#ASMEND
	s_waitcnt lgkmcnt(3)
	;;#ASMSTART
	v_dot2_f32_f16 v7, v56, v64, v7
	;;#ASMEND
	;;#ASMSTART
	v_dot2_f32_f16 v7, v57, v65, v7
	;;#ASMEND
	;;#ASMSTART
	v_dot2_f32_f16 v7, v58, v66, v7
	;;#ASMEND
	;;#ASMSTART
	v_dot2_f32_f16 v7, v59, v67, v7
	;;#ASMEND
	;; [unrolled: 13-line block ×5, first 2 shown]
	;;#ASMSTART
	v_dot2_f32_f16 v8, v76, v64, v8
	;;#ASMEND
	;;#ASMSTART
	v_dot2_f32_f16 v8, v77, v65, v8
	;;#ASMEND
	;; [unrolled: 3-line block ×12, first 2 shown]
	ds_read_b128 v[56:59], v31 offset:48
	ds_read_b128 v[60:63], v26 offset:48
	;; [unrolled: 1-line block ×6, first 2 shown]
	s_waitcnt lgkmcnt(4)
	;;#ASMSTART
	v_dot2_f32_f16 v9, v56, v60, v9
	;;#ASMEND
	;;#ASMSTART
	v_dot2_f32_f16 v9, v57, v61, v9
	;;#ASMEND
	;;#ASMSTART
	v_dot2_f32_f16 v9, v58, v62, v9
	;;#ASMEND
	;;#ASMSTART
	v_dot2_f32_f16 v9, v59, v63, v9
	;;#ASMEND
	s_waitcnt lgkmcnt(3)
	;;#ASMSTART
	v_dot2_f32_f16 v7, v56, v64, v7
	;;#ASMEND
	;;#ASMSTART
	v_dot2_f32_f16 v7, v57, v65, v7
	;;#ASMEND
	;;#ASMSTART
	v_dot2_f32_f16 v7, v58, v66, v7
	;;#ASMEND
	;;#ASMSTART
	v_dot2_f32_f16 v7, v59, v67, v7
	;;#ASMEND
	;; [unrolled: 13-line block ×5, first 2 shown]
	;;#ASMSTART
	v_dot2_f32_f16 v8, v76, v64, v8
	;;#ASMEND
	;;#ASMSTART
	v_dot2_f32_f16 v8, v77, v65, v8
	;;#ASMEND
	;; [unrolled: 3-line block ×12, first 2 shown]
	ds_read_b128 v[56:59], v31 offset:64
	ds_read_b128 v[60:63], v26 offset:64
	ds_read_b128 v[64:67], v26 offset:448
	ds_read_b128 v[68:71], v26 offset:832
	ds_read_b128 v[72:75], v26 offset:1216
	ds_read_b128 v[76:79], v31 offset:4672
	s_waitcnt lgkmcnt(4)
	;;#ASMSTART
	v_dot2_f32_f16 v9, v56, v60, v9
	;;#ASMEND
	;;#ASMSTART
	v_dot2_f32_f16 v9, v57, v61, v9
	;;#ASMEND
	;;#ASMSTART
	v_dot2_f32_f16 v9, v58, v62, v9
	;;#ASMEND
	;;#ASMSTART
	v_dot2_f32_f16 v9, v59, v63, v9
	;;#ASMEND
	s_waitcnt lgkmcnt(3)
	;;#ASMSTART
	v_dot2_f32_f16 v7, v56, v64, v7
	;;#ASMEND
	;;#ASMSTART
	v_dot2_f32_f16 v7, v57, v65, v7
	;;#ASMEND
	;;#ASMSTART
	v_dot2_f32_f16 v7, v58, v66, v7
	;;#ASMEND
	;;#ASMSTART
	v_dot2_f32_f16 v7, v59, v67, v7
	;;#ASMEND
	;; [unrolled: 13-line block ×5, first 2 shown]
	;;#ASMSTART
	v_dot2_f32_f16 v8, v76, v64, v8
	;;#ASMEND
	;;#ASMSTART
	v_dot2_f32_f16 v8, v77, v65, v8
	;;#ASMEND
	;; [unrolled: 3-line block ×12, first 2 shown]
	ds_read_b128 v[56:59], v31 offset:80
	ds_read_b128 v[60:63], v26 offset:80
	ds_read_b128 v[64:67], v26 offset:464
	ds_read_b128 v[68:71], v26 offset:848
	ds_read_b128 v[72:75], v26 offset:1232
	ds_read_b128 v[76:79], v31 offset:4688
	s_waitcnt lgkmcnt(4)
	;;#ASMSTART
	v_dot2_f32_f16 v9, v56, v60, v9
	;;#ASMEND
	;;#ASMSTART
	v_dot2_f32_f16 v9, v57, v61, v9
	;;#ASMEND
	;;#ASMSTART
	v_dot2_f32_f16 v9, v58, v62, v9
	;;#ASMEND
	;;#ASMSTART
	v_dot2_f32_f16 v9, v59, v63, v9
	;;#ASMEND
	s_waitcnt lgkmcnt(3)
	;;#ASMSTART
	v_dot2_f32_f16 v7, v56, v64, v7
	;;#ASMEND
	;;#ASMSTART
	v_dot2_f32_f16 v7, v57, v65, v7
	;;#ASMEND
	;;#ASMSTART
	v_dot2_f32_f16 v7, v58, v66, v7
	;;#ASMEND
	;;#ASMSTART
	v_dot2_f32_f16 v7, v59, v67, v7
	;;#ASMEND
	;; [unrolled: 13-line block ×5, first 2 shown]
	;;#ASMSTART
	v_dot2_f32_f16 v8, v76, v64, v8
	;;#ASMEND
	;;#ASMSTART
	v_dot2_f32_f16 v8, v77, v65, v8
	;;#ASMEND
	;; [unrolled: 3-line block ×12, first 2 shown]
	ds_read_b128 v[56:59], v31 offset:96
	ds_read_b128 v[60:63], v26 offset:96
	;; [unrolled: 1-line block ×6, first 2 shown]
	s_waitcnt lgkmcnt(4)
	;;#ASMSTART
	v_dot2_f32_f16 v9, v56, v60, v9
	;;#ASMEND
	;;#ASMSTART
	v_dot2_f32_f16 v9, v57, v61, v9
	;;#ASMEND
	;;#ASMSTART
	v_dot2_f32_f16 v9, v58, v62, v9
	;;#ASMEND
	;;#ASMSTART
	v_dot2_f32_f16 v9, v59, v63, v9
	;;#ASMEND
	s_waitcnt lgkmcnt(3)
	;;#ASMSTART
	v_dot2_f32_f16 v7, v56, v64, v7
	;;#ASMEND
	;;#ASMSTART
	v_dot2_f32_f16 v7, v57, v65, v7
	;;#ASMEND
	;;#ASMSTART
	v_dot2_f32_f16 v7, v58, v66, v7
	;;#ASMEND
	;;#ASMSTART
	v_dot2_f32_f16 v7, v59, v67, v7
	;;#ASMEND
	;; [unrolled: 13-line block ×5, first 2 shown]
	;;#ASMSTART
	v_dot2_f32_f16 v8, v76, v64, v8
	;;#ASMEND
	;;#ASMSTART
	v_dot2_f32_f16 v8, v77, v65, v8
	;;#ASMEND
	;; [unrolled: 3-line block ×12, first 2 shown]
	ds_read_b128 v[56:59], v31 offset:112
	ds_read_b128 v[60:63], v26 offset:112
	;; [unrolled: 1-line block ×6, first 2 shown]
	s_waitcnt lgkmcnt(4)
	;;#ASMSTART
	v_dot2_f32_f16 v9, v56, v60, v9
	;;#ASMEND
	;;#ASMSTART
	v_dot2_f32_f16 v9, v57, v61, v9
	;;#ASMEND
	;;#ASMSTART
	v_dot2_f32_f16 v9, v58, v62, v9
	;;#ASMEND
	;;#ASMSTART
	v_dot2_f32_f16 v9, v59, v63, v9
	;;#ASMEND
	s_waitcnt lgkmcnt(3)
	;;#ASMSTART
	v_dot2_f32_f16 v7, v56, v64, v7
	;;#ASMEND
	;;#ASMSTART
	v_dot2_f32_f16 v7, v57, v65, v7
	;;#ASMEND
	;;#ASMSTART
	v_dot2_f32_f16 v7, v58, v66, v7
	;;#ASMEND
	;;#ASMSTART
	v_dot2_f32_f16 v7, v59, v67, v7
	;;#ASMEND
	;; [unrolled: 13-line block ×5, first 2 shown]
	;;#ASMSTART
	v_dot2_f32_f16 v8, v76, v64, v8
	;;#ASMEND
	;;#ASMSTART
	v_dot2_f32_f16 v8, v77, v65, v8
	;;#ASMEND
	;; [unrolled: 3-line block ×12, first 2 shown]
	s_barrier
	buffer_gl0_inv
	s_clause 0x1
	global_load_dwordx4 v[56:59], v[1:2], off offset:128
	global_load_dwordx4 v[60:63], v[3:4], off offset:128
	s_waitcnt vmcnt(1)
	ds_write_b128 v29, v[56:59]
	s_waitcnt vmcnt(0)
	ds_write_b128 v30, v[60:63]
	s_waitcnt lgkmcnt(0)
	s_barrier
	buffer_gl0_inv
	ds_read_b128 v[56:59], v31
	ds_read_b128 v[60:63], v26 offset:128
	ds_read_b128 v[64:67], v26 offset:512
	;; [unrolled: 1-line block ×5, first 2 shown]
	s_waitcnt lgkmcnt(4)
	;;#ASMSTART
	v_dot2_f32_f16 v9, v56, v60, v9
	;;#ASMEND
	;;#ASMSTART
	v_dot2_f32_f16 v9, v57, v61, v9
	;;#ASMEND
	;;#ASMSTART
	v_dot2_f32_f16 v9, v58, v62, v9
	;;#ASMEND
	;;#ASMSTART
	v_dot2_f32_f16 v9, v59, v63, v9
	;;#ASMEND
	s_waitcnt lgkmcnt(3)
	;;#ASMSTART
	v_dot2_f32_f16 v7, v56, v64, v7
	;;#ASMEND
	;;#ASMSTART
	v_dot2_f32_f16 v7, v57, v65, v7
	;;#ASMEND
	;;#ASMSTART
	v_dot2_f32_f16 v7, v58, v66, v7
	;;#ASMEND
	;;#ASMSTART
	v_dot2_f32_f16 v7, v59, v67, v7
	;;#ASMEND
	;; [unrolled: 13-line block ×5, first 2 shown]
	;;#ASMSTART
	v_dot2_f32_f16 v8, v76, v64, v8
	;;#ASMEND
	;;#ASMSTART
	v_dot2_f32_f16 v8, v77, v65, v8
	;;#ASMEND
	;; [unrolled: 3-line block ×12, first 2 shown]
	ds_read_b128 v[56:59], v31 offset:16
	ds_read_b128 v[60:63], v26 offset:144
	;; [unrolled: 1-line block ×6, first 2 shown]
	s_waitcnt lgkmcnt(4)
	;;#ASMSTART
	v_dot2_f32_f16 v9, v56, v60, v9
	;;#ASMEND
	;;#ASMSTART
	v_dot2_f32_f16 v9, v57, v61, v9
	;;#ASMEND
	;;#ASMSTART
	v_dot2_f32_f16 v9, v58, v62, v9
	;;#ASMEND
	;;#ASMSTART
	v_dot2_f32_f16 v9, v59, v63, v9
	;;#ASMEND
	s_waitcnt lgkmcnt(3)
	;;#ASMSTART
	v_dot2_f32_f16 v7, v56, v64, v7
	;;#ASMEND
	;;#ASMSTART
	v_dot2_f32_f16 v7, v57, v65, v7
	;;#ASMEND
	;;#ASMSTART
	v_dot2_f32_f16 v7, v58, v66, v7
	;;#ASMEND
	;;#ASMSTART
	v_dot2_f32_f16 v7, v59, v67, v7
	;;#ASMEND
	;; [unrolled: 13-line block ×5, first 2 shown]
	;;#ASMSTART
	v_dot2_f32_f16 v8, v76, v64, v8
	;;#ASMEND
	;;#ASMSTART
	v_dot2_f32_f16 v8, v77, v65, v8
	;;#ASMEND
	;; [unrolled: 3-line block ×12, first 2 shown]
	ds_read_b128 v[56:59], v31 offset:32
	ds_read_b128 v[60:63], v26 offset:160
	;; [unrolled: 1-line block ×6, first 2 shown]
	s_waitcnt lgkmcnt(4)
	;;#ASMSTART
	v_dot2_f32_f16 v9, v56, v60, v9
	;;#ASMEND
	;;#ASMSTART
	v_dot2_f32_f16 v9, v57, v61, v9
	;;#ASMEND
	;;#ASMSTART
	v_dot2_f32_f16 v9, v58, v62, v9
	;;#ASMEND
	;;#ASMSTART
	v_dot2_f32_f16 v9, v59, v63, v9
	;;#ASMEND
	s_waitcnt lgkmcnt(3)
	;;#ASMSTART
	v_dot2_f32_f16 v7, v56, v64, v7
	;;#ASMEND
	;;#ASMSTART
	v_dot2_f32_f16 v7, v57, v65, v7
	;;#ASMEND
	;;#ASMSTART
	v_dot2_f32_f16 v7, v58, v66, v7
	;;#ASMEND
	;;#ASMSTART
	v_dot2_f32_f16 v7, v59, v67, v7
	;;#ASMEND
	s_waitcnt lgkmcnt(2)
	;;#ASMSTART
	v_dot2_f32_f16 v5, v56, v68, v5
	;;#ASMEND
	;;#ASMSTART
	v_dot2_f32_f16 v5, v57, v69, v5
	;;#ASMEND
	;;#ASMSTART
	v_dot2_f32_f16 v5, v58, v70, v5
	;;#ASMEND
	;;#ASMSTART
	v_dot2_f32_f16 v5, v59, v71, v5
	;;#ASMEND
	s_waitcnt lgkmcnt(1)
	;;#ASMSTART
	v_dot2_f32_f16 v54, v56, v72, v54
	;;#ASMEND
	;;#ASMSTART
	v_dot2_f32_f16 v54, v57, v73, v54
	;;#ASMEND
	;;#ASMSTART
	v_dot2_f32_f16 v54, v58, v74, v54
	;;#ASMEND
	;;#ASMSTART
	v_dot2_f32_f16 v54, v59, v75, v54
	;;#ASMEND
	s_waitcnt lgkmcnt(0)
	;;#ASMSTART
	v_dot2_f32_f16 v10, v76, v60, v10
	;;#ASMEND
	;;#ASMSTART
	v_dot2_f32_f16 v10, v77, v61, v10
	;;#ASMEND
	;;#ASMSTART
	v_dot2_f32_f16 v10, v78, v62, v10
	;;#ASMEND
	;;#ASMSTART
	v_dot2_f32_f16 v10, v79, v63, v10
	;;#ASMEND
	;;#ASMSTART
	v_dot2_f32_f16 v8, v76, v64, v8
	;;#ASMEND
	;;#ASMSTART
	v_dot2_f32_f16 v8, v77, v65, v8
	;;#ASMEND
	;; [unrolled: 3-line block ×12, first 2 shown]
	ds_read_b128 v[56:59], v31 offset:48
	ds_read_b128 v[60:63], v26 offset:176
	;; [unrolled: 1-line block ×6, first 2 shown]
	s_waitcnt lgkmcnt(4)
	;;#ASMSTART
	v_dot2_f32_f16 v9, v56, v60, v9
	;;#ASMEND
	;;#ASMSTART
	v_dot2_f32_f16 v9, v57, v61, v9
	;;#ASMEND
	;;#ASMSTART
	v_dot2_f32_f16 v9, v58, v62, v9
	;;#ASMEND
	;;#ASMSTART
	v_dot2_f32_f16 v9, v59, v63, v9
	;;#ASMEND
	s_waitcnt lgkmcnt(3)
	;;#ASMSTART
	v_dot2_f32_f16 v7, v56, v64, v7
	;;#ASMEND
	;;#ASMSTART
	v_dot2_f32_f16 v7, v57, v65, v7
	;;#ASMEND
	;;#ASMSTART
	v_dot2_f32_f16 v7, v58, v66, v7
	;;#ASMEND
	;;#ASMSTART
	v_dot2_f32_f16 v7, v59, v67, v7
	;;#ASMEND
	;; [unrolled: 13-line block ×5, first 2 shown]
	;;#ASMSTART
	v_dot2_f32_f16 v8, v76, v64, v8
	;;#ASMEND
	;;#ASMSTART
	v_dot2_f32_f16 v8, v77, v65, v8
	;;#ASMEND
	;; [unrolled: 3-line block ×12, first 2 shown]
	ds_read_b128 v[56:59], v31 offset:64
	ds_read_b128 v[60:63], v26 offset:192
	;; [unrolled: 1-line block ×6, first 2 shown]
	s_waitcnt lgkmcnt(4)
	;;#ASMSTART
	v_dot2_f32_f16 v9, v56, v60, v9
	;;#ASMEND
	;;#ASMSTART
	v_dot2_f32_f16 v9, v57, v61, v9
	;;#ASMEND
	;;#ASMSTART
	v_dot2_f32_f16 v9, v58, v62, v9
	;;#ASMEND
	;;#ASMSTART
	v_dot2_f32_f16 v9, v59, v63, v9
	;;#ASMEND
	s_waitcnt lgkmcnt(3)
	;;#ASMSTART
	v_dot2_f32_f16 v7, v56, v64, v7
	;;#ASMEND
	;;#ASMSTART
	v_dot2_f32_f16 v7, v57, v65, v7
	;;#ASMEND
	;;#ASMSTART
	v_dot2_f32_f16 v7, v58, v66, v7
	;;#ASMEND
	;;#ASMSTART
	v_dot2_f32_f16 v7, v59, v67, v7
	;;#ASMEND
	;; [unrolled: 13-line block ×5, first 2 shown]
	;;#ASMSTART
	v_dot2_f32_f16 v8, v76, v64, v8
	;;#ASMEND
	;;#ASMSTART
	v_dot2_f32_f16 v8, v77, v65, v8
	;;#ASMEND
	;; [unrolled: 3-line block ×12, first 2 shown]
	ds_read_b128 v[56:59], v31 offset:80
	ds_read_b128 v[60:63], v26 offset:208
	;; [unrolled: 1-line block ×6, first 2 shown]
	s_waitcnt lgkmcnt(4)
	;;#ASMSTART
	v_dot2_f32_f16 v9, v56, v60, v9
	;;#ASMEND
	;;#ASMSTART
	v_dot2_f32_f16 v9, v57, v61, v9
	;;#ASMEND
	;;#ASMSTART
	v_dot2_f32_f16 v9, v58, v62, v9
	;;#ASMEND
	;;#ASMSTART
	v_dot2_f32_f16 v9, v59, v63, v9
	;;#ASMEND
	s_waitcnt lgkmcnt(3)
	;;#ASMSTART
	v_dot2_f32_f16 v7, v56, v64, v7
	;;#ASMEND
	;;#ASMSTART
	v_dot2_f32_f16 v7, v57, v65, v7
	;;#ASMEND
	;;#ASMSTART
	v_dot2_f32_f16 v7, v58, v66, v7
	;;#ASMEND
	;;#ASMSTART
	v_dot2_f32_f16 v7, v59, v67, v7
	;;#ASMEND
	;; [unrolled: 13-line block ×5, first 2 shown]
	;;#ASMSTART
	v_dot2_f32_f16 v8, v76, v64, v8
	;;#ASMEND
	;;#ASMSTART
	v_dot2_f32_f16 v8, v77, v65, v8
	;;#ASMEND
	;; [unrolled: 3-line block ×12, first 2 shown]
	ds_read_b128 v[56:59], v31 offset:96
	ds_read_b128 v[60:63], v26 offset:224
	;; [unrolled: 1-line block ×6, first 2 shown]
	s_waitcnt lgkmcnt(4)
	;;#ASMSTART
	v_dot2_f32_f16 v9, v56, v60, v9
	;;#ASMEND
	;;#ASMSTART
	v_dot2_f32_f16 v9, v57, v61, v9
	;;#ASMEND
	;;#ASMSTART
	v_dot2_f32_f16 v9, v58, v62, v9
	;;#ASMEND
	;;#ASMSTART
	v_dot2_f32_f16 v9, v59, v63, v9
	;;#ASMEND
	s_waitcnt lgkmcnt(3)
	;;#ASMSTART
	v_dot2_f32_f16 v7, v56, v64, v7
	;;#ASMEND
	;;#ASMSTART
	v_dot2_f32_f16 v7, v57, v65, v7
	;;#ASMEND
	;;#ASMSTART
	v_dot2_f32_f16 v7, v58, v66, v7
	;;#ASMEND
	;;#ASMSTART
	v_dot2_f32_f16 v7, v59, v67, v7
	;;#ASMEND
	;; [unrolled: 13-line block ×5, first 2 shown]
	;;#ASMSTART
	v_dot2_f32_f16 v8, v76, v64, v8
	;;#ASMEND
	;;#ASMSTART
	v_dot2_f32_f16 v8, v77, v65, v8
	;;#ASMEND
	;; [unrolled: 3-line block ×12, first 2 shown]
	ds_read_b128 v[56:59], v31 offset:112
	ds_read_b128 v[60:63], v26 offset:240
	;; [unrolled: 1-line block ×6, first 2 shown]
	s_waitcnt lgkmcnt(4)
	;;#ASMSTART
	v_dot2_f32_f16 v9, v56, v60, v9
	;;#ASMEND
	;;#ASMSTART
	v_dot2_f32_f16 v9, v57, v61, v9
	;;#ASMEND
	;;#ASMSTART
	v_dot2_f32_f16 v9, v58, v62, v9
	;;#ASMEND
	;;#ASMSTART
	v_dot2_f32_f16 v9, v59, v63, v9
	;;#ASMEND
	s_waitcnt lgkmcnt(3)
	;;#ASMSTART
	v_dot2_f32_f16 v7, v56, v64, v7
	;;#ASMEND
	;;#ASMSTART
	v_dot2_f32_f16 v7, v57, v65, v7
	;;#ASMEND
	;;#ASMSTART
	v_dot2_f32_f16 v7, v58, v66, v7
	;;#ASMEND
	;;#ASMSTART
	v_dot2_f32_f16 v7, v59, v67, v7
	;;#ASMEND
	;; [unrolled: 13-line block ×5, first 2 shown]
	;;#ASMSTART
	v_dot2_f32_f16 v8, v76, v64, v8
	;;#ASMEND
	;;#ASMSTART
	v_dot2_f32_f16 v8, v77, v65, v8
	;;#ASMEND
	;;#ASMSTART
	v_dot2_f32_f16 v8, v78, v66, v8
	;;#ASMEND
	;;#ASMSTART
	v_dot2_f32_f16 v8, v79, v67, v8
	;;#ASMEND
	;;#ASMSTART
	v_dot2_f32_f16 v6, v76, v68, v6
	;;#ASMEND
	;;#ASMSTART
	v_dot2_f32_f16 v6, v77, v69, v6
	;;#ASMEND
	;;#ASMSTART
	v_dot2_f32_f16 v6, v78, v70, v6
	;;#ASMEND
	;;#ASMSTART
	v_dot2_f32_f16 v6, v79, v71, v6
	;;#ASMEND
	;;#ASMSTART
	v_dot2_f32_f16 v55, v76, v72, v55
	;;#ASMEND
	;;#ASMSTART
	v_dot2_f32_f16 v55, v77, v73, v55
	;;#ASMEND
	;;#ASMSTART
	v_dot2_f32_f16 v55, v78, v74, v55
	;;#ASMEND
	;;#ASMSTART
	v_dot2_f32_f16 v55, v79, v75, v55
	;;#ASMEND
	s_barrier
	buffer_gl0_inv
	s_clause 0x1
	global_load_dwordx4 v[56:59], v[1:2], off offset:256
	global_load_dwordx4 v[1:4], v[3:4], off offset:256
	s_waitcnt vmcnt(1)
	ds_write_b128 v29, v[56:59]
	s_waitcnt vmcnt(0)
	ds_write_b128 v30, v[1:4]
	s_waitcnt lgkmcnt(0)
	s_barrier
	buffer_gl0_inv
	ds_read_b128 v[1:4], v31
	ds_read_b128 v[56:59], v26 offset:256
	ds_read_b128 v[60:63], v26 offset:640
	;; [unrolled: 1-line block ×5, first 2 shown]
	s_waitcnt lgkmcnt(4)
	;;#ASMSTART
	v_dot2_f32_f16 v9, v1, v56, v9
	;;#ASMEND
	;;#ASMSTART
	v_dot2_f32_f16 v9, v2, v57, v9
	;;#ASMEND
	;;#ASMSTART
	v_dot2_f32_f16 v9, v3, v58, v9
	;;#ASMEND
	;;#ASMSTART
	v_dot2_f32_f16 v9, v4, v59, v9
	;;#ASMEND
	s_waitcnt lgkmcnt(3)
	;;#ASMSTART
	v_dot2_f32_f16 v7, v1, v60, v7
	;;#ASMEND
	;;#ASMSTART
	v_dot2_f32_f16 v7, v2, v61, v7
	;;#ASMEND
	;;#ASMSTART
	v_dot2_f32_f16 v7, v3, v62, v7
	;;#ASMEND
	;;#ASMSTART
	v_dot2_f32_f16 v7, v4, v63, v7
	;;#ASMEND
	;; [unrolled: 13-line block ×5, first 2 shown]
	;;#ASMSTART
	v_dot2_f32_f16 v8, v72, v60, v8
	;;#ASMEND
	;;#ASMSTART
	v_dot2_f32_f16 v8, v73, v61, v8
	;;#ASMEND
	;; [unrolled: 3-line block ×12, first 2 shown]
	ds_read_b128 v[1:4], v31 offset:16
	ds_read_b128 v[56:59], v26 offset:272
	;; [unrolled: 1-line block ×6, first 2 shown]
	s_waitcnt lgkmcnt(4)
	;;#ASMSTART
	v_dot2_f32_f16 v9, v1, v56, v9
	;;#ASMEND
	;;#ASMSTART
	v_dot2_f32_f16 v9, v2, v57, v9
	;;#ASMEND
	;;#ASMSTART
	v_dot2_f32_f16 v9, v3, v58, v9
	;;#ASMEND
	;;#ASMSTART
	v_dot2_f32_f16 v9, v4, v59, v9
	;;#ASMEND
	s_waitcnt lgkmcnt(3)
	;;#ASMSTART
	v_dot2_f32_f16 v7, v1, v60, v7
	;;#ASMEND
	;;#ASMSTART
	v_dot2_f32_f16 v7, v2, v61, v7
	;;#ASMEND
	;;#ASMSTART
	v_dot2_f32_f16 v7, v3, v62, v7
	;;#ASMEND
	;;#ASMSTART
	v_dot2_f32_f16 v7, v4, v63, v7
	;;#ASMEND
	;; [unrolled: 13-line block ×5, first 2 shown]
	;;#ASMSTART
	v_dot2_f32_f16 v8, v72, v60, v8
	;;#ASMEND
	;;#ASMSTART
	v_dot2_f32_f16 v8, v73, v61, v8
	;;#ASMEND
	;; [unrolled: 3-line block ×12, first 2 shown]
	ds_read_b128 v[1:4], v31 offset:32
	ds_read_b128 v[56:59], v26 offset:288
	ds_read_b128 v[60:63], v26 offset:672
	ds_read_b128 v[64:67], v26 offset:1056
	ds_read_b128 v[68:71], v26 offset:1440
	ds_read_b128 v[72:75], v31 offset:4640
	s_waitcnt lgkmcnt(4)
	;;#ASMSTART
	v_dot2_f32_f16 v9, v1, v56, v9
	;;#ASMEND
	;;#ASMSTART
	v_dot2_f32_f16 v9, v2, v57, v9
	;;#ASMEND
	;;#ASMSTART
	v_dot2_f32_f16 v9, v3, v58, v9
	;;#ASMEND
	;;#ASMSTART
	v_dot2_f32_f16 v9, v4, v59, v9
	;;#ASMEND
	s_waitcnt lgkmcnt(3)
	;;#ASMSTART
	v_dot2_f32_f16 v7, v1, v60, v7
	;;#ASMEND
	;;#ASMSTART
	v_dot2_f32_f16 v7, v2, v61, v7
	;;#ASMEND
	;;#ASMSTART
	v_dot2_f32_f16 v7, v3, v62, v7
	;;#ASMEND
	;;#ASMSTART
	v_dot2_f32_f16 v7, v4, v63, v7
	;;#ASMEND
	;; [unrolled: 13-line block ×5, first 2 shown]
	;;#ASMSTART
	v_dot2_f32_f16 v8, v72, v60, v8
	;;#ASMEND
	;;#ASMSTART
	v_dot2_f32_f16 v8, v73, v61, v8
	;;#ASMEND
	;; [unrolled: 3-line block ×12, first 2 shown]
	ds_read_b128 v[1:4], v31 offset:48
	ds_read_b128 v[56:59], v26 offset:304
	;; [unrolled: 1-line block ×6, first 2 shown]
	s_waitcnt lgkmcnt(4)
	;;#ASMSTART
	v_dot2_f32_f16 v9, v1, v56, v9
	;;#ASMEND
	;;#ASMSTART
	v_dot2_f32_f16 v9, v2, v57, v9
	;;#ASMEND
	;;#ASMSTART
	v_dot2_f32_f16 v9, v3, v58, v9
	;;#ASMEND
	;;#ASMSTART
	v_dot2_f32_f16 v9, v4, v59, v9
	;;#ASMEND
	s_waitcnt lgkmcnt(3)
	;;#ASMSTART
	v_dot2_f32_f16 v7, v1, v60, v7
	;;#ASMEND
	;;#ASMSTART
	v_dot2_f32_f16 v7, v2, v61, v7
	;;#ASMEND
	;;#ASMSTART
	v_dot2_f32_f16 v7, v3, v62, v7
	;;#ASMEND
	;;#ASMSTART
	v_dot2_f32_f16 v7, v4, v63, v7
	;;#ASMEND
	;; [unrolled: 13-line block ×5, first 2 shown]
	;;#ASMSTART
	v_dot2_f32_f16 v8, v72, v60, v8
	;;#ASMEND
	;;#ASMSTART
	v_dot2_f32_f16 v8, v73, v61, v8
	;;#ASMEND
	;; [unrolled: 3-line block ×12, first 2 shown]
	ds_read_b128 v[1:4], v31 offset:64
	ds_read_b128 v[56:59], v26 offset:320
	;; [unrolled: 1-line block ×6, first 2 shown]
	s_waitcnt lgkmcnt(4)
	;;#ASMSTART
	v_dot2_f32_f16 v9, v1, v56, v9
	;;#ASMEND
	;;#ASMSTART
	v_dot2_f32_f16 v9, v2, v57, v9
	;;#ASMEND
	;;#ASMSTART
	v_dot2_f32_f16 v9, v3, v58, v9
	;;#ASMEND
	;;#ASMSTART
	v_dot2_f32_f16 v9, v4, v59, v9
	;;#ASMEND
	s_waitcnt lgkmcnt(3)
	;;#ASMSTART
	v_dot2_f32_f16 v7, v1, v60, v7
	;;#ASMEND
	;;#ASMSTART
	v_dot2_f32_f16 v7, v2, v61, v7
	;;#ASMEND
	;;#ASMSTART
	v_dot2_f32_f16 v7, v3, v62, v7
	;;#ASMEND
	;;#ASMSTART
	v_dot2_f32_f16 v7, v4, v63, v7
	;;#ASMEND
	s_waitcnt lgkmcnt(2)
	;;#ASMSTART
	v_dot2_f32_f16 v5, v1, v64, v5
	;;#ASMEND
	;;#ASMSTART
	v_dot2_f32_f16 v5, v2, v65, v5
	;;#ASMEND
	;;#ASMSTART
	v_dot2_f32_f16 v5, v3, v66, v5
	;;#ASMEND
	;;#ASMSTART
	v_dot2_f32_f16 v5, v4, v67, v5
	;;#ASMEND
	s_waitcnt lgkmcnt(1)
	;;#ASMSTART
	v_dot2_f32_f16 v54, v1, v68, v54
	;;#ASMEND
	;;#ASMSTART
	v_dot2_f32_f16 v54, v2, v69, v54
	;;#ASMEND
	;;#ASMSTART
	v_dot2_f32_f16 v54, v3, v70, v54
	;;#ASMEND
	;;#ASMSTART
	v_dot2_f32_f16 v54, v4, v71, v54
	;;#ASMEND
	s_waitcnt lgkmcnt(0)
	;;#ASMSTART
	v_dot2_f32_f16 v10, v72, v56, v10
	;;#ASMEND
	;;#ASMSTART
	v_dot2_f32_f16 v10, v73, v57, v10
	;;#ASMEND
	;;#ASMSTART
	v_dot2_f32_f16 v10, v74, v58, v10
	;;#ASMEND
	;;#ASMSTART
	v_dot2_f32_f16 v10, v75, v59, v10
	;;#ASMEND
	;;#ASMSTART
	v_dot2_f32_f16 v8, v72, v60, v8
	;;#ASMEND
	;;#ASMSTART
	v_dot2_f32_f16 v8, v73, v61, v8
	;;#ASMEND
	;;#ASMSTART
	v_dot2_f32_f16 v8, v74, v62, v8
	;;#ASMEND
	;;#ASMSTART
	v_dot2_f32_f16 v8, v75, v63, v8
	;;#ASMEND
	;;#ASMSTART
	v_dot2_f32_f16 v6, v72, v64, v6
	;;#ASMEND
	;;#ASMSTART
	v_dot2_f32_f16 v6, v73, v65, v6
	;;#ASMEND
	;;#ASMSTART
	v_dot2_f32_f16 v6, v74, v66, v6
	;;#ASMEND
	;;#ASMSTART
	v_dot2_f32_f16 v6, v75, v67, v6
	;;#ASMEND
	;;#ASMSTART
	v_dot2_f32_f16 v55, v72, v68, v55
	;;#ASMEND
	;;#ASMSTART
	v_dot2_f32_f16 v55, v73, v69, v55
	;;#ASMEND
	;;#ASMSTART
	v_dot2_f32_f16 v55, v74, v70, v55
	;;#ASMEND
	;;#ASMSTART
	v_dot2_f32_f16 v55, v75, v71, v55
	;;#ASMEND
	ds_read_b128 v[1:4], v31 offset:80
	ds_read_b128 v[56:59], v26 offset:336
	;; [unrolled: 1-line block ×6, first 2 shown]
	s_waitcnt lgkmcnt(4)
	;;#ASMSTART
	v_dot2_f32_f16 v9, v1, v56, v9
	;;#ASMEND
	;;#ASMSTART
	v_dot2_f32_f16 v9, v2, v57, v9
	;;#ASMEND
	;;#ASMSTART
	v_dot2_f32_f16 v9, v3, v58, v9
	;;#ASMEND
	;;#ASMSTART
	v_dot2_f32_f16 v9, v4, v59, v9
	;;#ASMEND
	s_waitcnt lgkmcnt(3)
	;;#ASMSTART
	v_dot2_f32_f16 v7, v1, v60, v7
	;;#ASMEND
	;;#ASMSTART
	v_dot2_f32_f16 v7, v2, v61, v7
	;;#ASMEND
	;;#ASMSTART
	v_dot2_f32_f16 v7, v3, v62, v7
	;;#ASMEND
	;;#ASMSTART
	v_dot2_f32_f16 v7, v4, v63, v7
	;;#ASMEND
	;; [unrolled: 13-line block ×5, first 2 shown]
	;;#ASMSTART
	v_dot2_f32_f16 v8, v72, v60, v8
	;;#ASMEND
	;;#ASMSTART
	v_dot2_f32_f16 v8, v73, v61, v8
	;;#ASMEND
	;; [unrolled: 3-line block ×12, first 2 shown]
	ds_read_b128 v[1:4], v31 offset:96
	ds_read_b128 v[56:59], v26 offset:352
	;; [unrolled: 1-line block ×6, first 2 shown]
	s_waitcnt lgkmcnt(4)
	;;#ASMSTART
	v_dot2_f32_f16 v9, v1, v56, v9
	;;#ASMEND
	;;#ASMSTART
	v_dot2_f32_f16 v9, v2, v57, v9
	;;#ASMEND
	;;#ASMSTART
	v_dot2_f32_f16 v9, v3, v58, v9
	;;#ASMEND
	;;#ASMSTART
	v_dot2_f32_f16 v9, v4, v59, v9
	;;#ASMEND
	s_waitcnt lgkmcnt(3)
	;;#ASMSTART
	v_dot2_f32_f16 v7, v1, v60, v7
	;;#ASMEND
	;;#ASMSTART
	v_dot2_f32_f16 v7, v2, v61, v7
	;;#ASMEND
	;;#ASMSTART
	v_dot2_f32_f16 v7, v3, v62, v7
	;;#ASMEND
	;;#ASMSTART
	v_dot2_f32_f16 v7, v4, v63, v7
	;;#ASMEND
	;; [unrolled: 13-line block ×5, first 2 shown]
	;;#ASMSTART
	v_dot2_f32_f16 v8, v72, v60, v8
	;;#ASMEND
	;;#ASMSTART
	v_dot2_f32_f16 v8, v73, v61, v8
	;;#ASMEND
	;; [unrolled: 3-line block ×12, first 2 shown]
	ds_read_b128 v[1:4], v31 offset:112
	ds_read_b128 v[56:59], v26 offset:368
	ds_read_b128 v[60:63], v26 offset:752
	ds_read_b128 v[64:67], v26 offset:1136
	ds_read_b128 v[68:71], v26 offset:1520
	ds_read_b128 v[72:75], v31 offset:4720
	s_waitcnt lgkmcnt(4)
	;;#ASMSTART
	v_dot2_f32_f16 v9, v1, v56, v9
	;;#ASMEND
	;;#ASMSTART
	v_dot2_f32_f16 v9, v2, v57, v9
	;;#ASMEND
	;;#ASMSTART
	v_dot2_f32_f16 v9, v3, v58, v9
	;;#ASMEND
	;;#ASMSTART
	v_dot2_f32_f16 v9, v4, v59, v9
	;;#ASMEND
	s_waitcnt lgkmcnt(3)
	;;#ASMSTART
	v_dot2_f32_f16 v7, v1, v60, v7
	;;#ASMEND
	;;#ASMSTART
	v_dot2_f32_f16 v7, v2, v61, v7
	;;#ASMEND
	;;#ASMSTART
	v_dot2_f32_f16 v7, v3, v62, v7
	;;#ASMEND
	;;#ASMSTART
	v_dot2_f32_f16 v7, v4, v63, v7
	;;#ASMEND
	;; [unrolled: 13-line block ×5, first 2 shown]
	;;#ASMSTART
	v_dot2_f32_f16 v8, v72, v60, v8
	;;#ASMEND
	;;#ASMSTART
	v_dot2_f32_f16 v8, v73, v61, v8
	;;#ASMEND
	;; [unrolled: 3-line block ×5, first 2 shown]
	v_cmp_ngt_f32_e64 s18, 0x3f200000, |v9|
	;;#ASMSTART
	v_dot2_f32_f16 v6, v73, v65, v6
	;;#ASMEND
	;;#ASMSTART
	v_dot2_f32_f16 v6, v74, v66, v6
	;;#ASMEND
	;; [unrolled: 3-line block ×7, first 2 shown]
                                        ; implicit-def: $vgpr3
	s_and_saveexec_b32 s19, s18
	s_xor_b32 s18, exec_lo, s19
	s_cbranch_execz .LBB19_19
; %bb.18:                               ;   in Loop: Header=BB19_17 Depth=1
	v_add_f32_e64 v1, |v9|, |v9|
	v_mul_f32_e32 v2, 0x3fb8aa3b, v1
	v_cmp_ngt_f32_e32 vcc_lo, 0xc2ce8ed0, v1
	v_rndne_f32_e32 v3, v2
	v_fma_f32 v4, 0x3fb8aa3b, v1, -v2
	v_sub_f32_e32 v2, v2, v3
	v_fmac_f32_e32 v4, 0x32a5705f, v1
	v_cvt_i32_f32_e32 v3, v3
	v_add_f32_e32 v2, v2, v4
	v_exp_f32_e32 v2, v2
	v_ldexp_f32 v2, v2, v3
	v_cndmask_b32_e32 v2, 0, v2, vcc_lo
	v_cmp_nlt_f32_e32 vcc_lo, 0x42b17218, v1
	v_cndmask_b32_e32 v1, 0x7f800000, v2, vcc_lo
	v_add_f32_e32 v1, 1.0, v1
	v_rcp_f32_e32 v1, v1
	v_fma_f32 v3, v1, -2.0, 1.0
.LBB19_19:                              ;   in Loop: Header=BB19_17 Depth=1
	s_andn2_saveexec_b32 s18, s18
	s_cbranch_execz .LBB19_21
; %bb.20:                               ;   in Loop: Header=BB19_17 Depth=1
	v_mul_f32_e32 v1, v9, v9
	v_fmaak_f32 v2, s15, v1, 0x3ca908c9
	v_fmaak_f32 v2, v1, v2, 0xbd5c1c4e
	;; [unrolled: 1-line block ×4, first 2 shown]
	v_mul_f32_e64 v2, |v9|, v2
	v_fma_f32 v3, v1, v2, |v9|
.LBB19_21:                              ;   in Loop: Header=BB19_17 Depth=1
	s_or_b32 exec_lo, exec_lo, s18
	v_add_nc_u32_e32 v1, s6, v14
	v_cmp_ngt_f32_e64 s18, 0x3f200000, |v10|
                                        ; implicit-def: $vgpr4
	v_ashrrev_i32_e32 v2, 31, v1
	v_lshlrev_b64 v[1:2], 1, v[1:2]
	v_add_co_u32 v1, vcc_lo, s34, v1
	v_add_co_ci_u32_e64 v2, null, s35, v2, vcc_lo
	global_load_ushort v11, v[1:2], off
	s_and_saveexec_b32 s19, s18
	s_xor_b32 s18, exec_lo, s19
	s_cbranch_execz .LBB19_23
; %bb.22:                               ;   in Loop: Header=BB19_17 Depth=1
	v_add_f32_e64 v4, |v10|, |v10|
	v_mul_f32_e32 v12, 0x3fb8aa3b, v4
	v_cmp_ngt_f32_e32 vcc_lo, 0xc2ce8ed0, v4
	v_rndne_f32_e32 v56, v12
	v_fma_f32 v57, 0x3fb8aa3b, v4, -v12
	v_sub_f32_e32 v12, v12, v56
	v_fmac_f32_e32 v57, 0x32a5705f, v4
	v_cvt_i32_f32_e32 v56, v56
	v_add_f32_e32 v12, v12, v57
	v_exp_f32_e32 v12, v12
	v_ldexp_f32 v12, v12, v56
	v_cndmask_b32_e32 v12, 0, v12, vcc_lo
	v_cmp_nlt_f32_e32 vcc_lo, 0x42b17218, v4
	v_cndmask_b32_e32 v4, 0x7f800000, v12, vcc_lo
	v_add_f32_e32 v4, 1.0, v4
	v_rcp_f32_e32 v4, v4
	v_fma_f32 v4, v4, -2.0, 1.0
.LBB19_23:                              ;   in Loop: Header=BB19_17 Depth=1
	s_andn2_saveexec_b32 s18, s18
	s_cbranch_execz .LBB19_25
; %bb.24:                               ;   in Loop: Header=BB19_17 Depth=1
	v_mul_f32_e32 v4, v10, v10
	v_fmaak_f32 v12, s15, v4, 0x3ca908c9
	v_fmaak_f32 v12, v4, v12, 0xbd5c1c4e
	;; [unrolled: 1-line block ×4, first 2 shown]
	v_mul_f32_e64 v12, |v10|, v12
	v_fma_f32 v4, v4, v12, |v10|
.LBB19_25:                              ;   in Loop: Header=BB19_17 Depth=1
	s_or_b32 exec_lo, exec_lo, s18
	global_load_ushort v12, v[1:2], off offset:64
	v_bfi_b32 v1, 0x7fffffff, v3, v9
	v_bfi_b32 v2, 0x7fffffff, v4, v10
	v_xor_b32_e32 v60, 16, v27
	v_xor_b32_e32 v59, 8, v27
	;; [unrolled: 1-line block ×3, first 2 shown]
	s_waitcnt vmcnt(1)
	v_fma_mix_f32 v68, s10, v1, v11 op_sel_hi:[0,0,1]
	v_xor_b32_e32 v57, 2, v27
	v_cmp_gt_i32_e32 vcc_lo, 32, v60
	v_xor_b32_e32 v56, 1, v27
	v_cmp_ngt_f32_e64 s18, 0x3f200000, |v7|
                                        ; implicit-def: $vgpr9
	v_cndmask_b32_e32 v1, v27, v60, vcc_lo
	v_cmp_gt_i32_e32 vcc_lo, 32, v59
	v_lshlrev_b32_e32 v1, 2, v1
	v_cndmask_b32_e32 v4, v27, v59, vcc_lo
	v_cmp_gt_i32_e32 vcc_lo, 32, v58
	v_lshlrev_b32_e32 v67, 2, v4
	;; [unrolled: 3-line block ×4, first 2 shown]
	v_cndmask_b32_e32 v4, v27, v56, vcc_lo
	v_lshlrev_b32_e32 v4, 2, v4
	s_waitcnt vmcnt(0)
	v_fma_mix_f32 v69, s10, v2, v12 op_sel_hi:[0,0,1]
	v_add_f32_e32 v2, 0x40051340, v68
	v_add_f32_e32 v3, 0x40051340, v69
	v_max3_f32 v2, v51, v2, v3
	ds_bpermute_b32 v3, v1, v2
	s_waitcnt lgkmcnt(0)
	v_max_f32_e32 v3, v3, v3
	v_max_f32_e32 v2, v2, v3
	ds_bpermute_b32 v3, v67, v2
	s_waitcnt lgkmcnt(0)
	v_max_f32_e32 v3, v3, v3
	v_max_f32_e32 v2, v2, v3
	;; [unrolled: 4-line block ×4, first 2 shown]
	ds_bpermute_b32 v3, v4, v2
	s_and_saveexec_b32 s19, s18
	s_xor_b32 s18, exec_lo, s19
	s_cbranch_execz .LBB19_27
; %bb.26:                               ;   in Loop: Header=BB19_17 Depth=1
	v_add_f32_e64 v9, |v7|, |v7|
	v_mul_f32_e32 v10, 0x3fb8aa3b, v9
	v_cmp_ngt_f32_e32 vcc_lo, 0xc2ce8ed0, v9
	v_rndne_f32_e32 v61, v10
	v_fma_f32 v62, 0x3fb8aa3b, v9, -v10
	v_sub_f32_e32 v10, v10, v61
	v_fmac_f32_e32 v62, 0x32a5705f, v9
	v_cvt_i32_f32_e32 v61, v61
	v_add_f32_e32 v10, v10, v62
	v_exp_f32_e32 v10, v10
	v_ldexp_f32 v10, v10, v61
	v_cndmask_b32_e32 v10, 0, v10, vcc_lo
	v_cmp_nlt_f32_e32 vcc_lo, 0x42b17218, v9
	v_cndmask_b32_e32 v9, 0x7f800000, v10, vcc_lo
	v_add_f32_e32 v9, 1.0, v9
	v_rcp_f32_e32 v9, v9
	v_fma_f32 v9, v9, -2.0, 1.0
.LBB19_27:                              ;   in Loop: Header=BB19_17 Depth=1
	s_andn2_saveexec_b32 s18, s18
	s_cbranch_execz .LBB19_29
; %bb.28:                               ;   in Loop: Header=BB19_17 Depth=1
	v_mul_f32_e32 v9, v7, v7
	v_fmaak_f32 v10, s15, v9, 0x3ca908c9
	v_fmaak_f32 v10, v9, v10, 0xbd5c1c4e
	;; [unrolled: 1-line block ×4, first 2 shown]
	v_mul_f32_e64 v10, |v7|, v10
	v_fma_f32 v9, v9, v10, |v7|
.LBB19_29:                              ;   in Loop: Header=BB19_17 Depth=1
	s_or_b32 exec_lo, exec_lo, s18
	v_cmp_ngt_f32_e64 s18, 0x3f200000, |v8|
                                        ; implicit-def: $vgpr10
	s_and_saveexec_b32 s19, s18
	s_xor_b32 s18, exec_lo, s19
	s_cbranch_execz .LBB19_31
; %bb.30:                               ;   in Loop: Header=BB19_17 Depth=1
	v_add_f32_e64 v10, |v8|, |v8|
	v_mul_f32_e32 v61, 0x3fb8aa3b, v10
	v_cmp_ngt_f32_e32 vcc_lo, 0xc2ce8ed0, v10
	v_rndne_f32_e32 v62, v61
	v_fma_f32 v65, 0x3fb8aa3b, v10, -v61
	v_sub_f32_e32 v61, v61, v62
	v_fmac_f32_e32 v65, 0x32a5705f, v10
	v_cvt_i32_f32_e32 v62, v62
	v_add_f32_e32 v61, v61, v65
	v_exp_f32_e32 v61, v61
	v_ldexp_f32 v61, v61, v62
	v_cndmask_b32_e32 v61, 0, v61, vcc_lo
	v_cmp_nlt_f32_e32 vcc_lo, 0x42b17218, v10
	v_cndmask_b32_e32 v10, 0x7f800000, v61, vcc_lo
	v_add_f32_e32 v10, 1.0, v10
	v_rcp_f32_e32 v10, v10
	v_fma_f32 v10, v10, -2.0, 1.0
.LBB19_31:                              ;   in Loop: Header=BB19_17 Depth=1
	s_andn2_saveexec_b32 s18, s18
	s_cbranch_execz .LBB19_33
; %bb.32:                               ;   in Loop: Header=BB19_17 Depth=1
	v_mul_f32_e32 v10, v8, v8
	v_fmaak_f32 v61, s15, v10, 0x3ca908c9
	v_fmaak_f32 v61, v10, v61, 0xbd5c1c4e
	;; [unrolled: 1-line block ×4, first 2 shown]
	v_mul_f32_e64 v61, |v8|, v61
	v_fma_f32 v10, v10, v61, |v8|
.LBB19_33:                              ;   in Loop: Header=BB19_17 Depth=1
	s_or_b32 exec_lo, exec_lo, s18
	v_cvt_f32_f16_e32 v66, v11
	v_cvt_f32_f16_e32 v65, v12
	v_bfi_b32 v7, 0x7fffffff, v9, v7
	v_bfi_b32 v8, 0x7fffffff, v10, v8
	v_cmp_ngt_f32_e64 s18, 0x3f200000, |v5|
	v_fma_f32 v70, s10, v7, v66
	v_fma_f32 v71, s10, v8, v65
	v_add_f32_e32 v7, 0x40051340, v70
	v_add_f32_e32 v8, 0x40051340, v71
	v_max3_f32 v7, v53, v7, v8
	ds_bpermute_b32 v8, v1, v7
	s_waitcnt lgkmcnt(0)
	v_max_f32_e32 v8, v8, v8
	v_max_f32_e32 v7, v7, v8
	ds_bpermute_b32 v8, v67, v7
	s_waitcnt lgkmcnt(0)
	v_max_f32_e32 v8, v8, v8
	v_max_f32_e32 v7, v7, v8
	;; [unrolled: 4-line block ×4, first 2 shown]
                                        ; implicit-def: $vgpr7
	ds_bpermute_b32 v62, v4, v61
	s_and_saveexec_b32 s19, s18
	s_xor_b32 s18, exec_lo, s19
	s_cbranch_execz .LBB19_35
; %bb.34:                               ;   in Loop: Header=BB19_17 Depth=1
	v_add_f32_e64 v7, |v5|, |v5|
	v_mul_f32_e32 v8, 0x3fb8aa3b, v7
	v_cmp_ngt_f32_e32 vcc_lo, 0xc2ce8ed0, v7
	v_rndne_f32_e32 v9, v8
	v_fma_f32 v10, 0x3fb8aa3b, v7, -v8
	v_sub_f32_e32 v8, v8, v9
	v_fmac_f32_e32 v10, 0x32a5705f, v7
	v_cvt_i32_f32_e32 v9, v9
	v_add_f32_e32 v8, v8, v10
	v_exp_f32_e32 v8, v8
	v_ldexp_f32 v8, v8, v9
	v_cndmask_b32_e32 v8, 0, v8, vcc_lo
	v_cmp_nlt_f32_e32 vcc_lo, 0x42b17218, v7
	v_cndmask_b32_e32 v7, 0x7f800000, v8, vcc_lo
	v_add_f32_e32 v7, 1.0, v7
	v_rcp_f32_e32 v7, v7
	v_fma_f32 v7, v7, -2.0, 1.0
.LBB19_35:                              ;   in Loop: Header=BB19_17 Depth=1
	s_andn2_saveexec_b32 s18, s18
	s_cbranch_execz .LBB19_37
; %bb.36:                               ;   in Loop: Header=BB19_17 Depth=1
	v_mul_f32_e32 v7, v5, v5
	v_fmaak_f32 v8, s15, v7, 0x3ca908c9
	v_fmaak_f32 v8, v7, v8, 0xbd5c1c4e
	;; [unrolled: 1-line block ×4, first 2 shown]
	v_mul_f32_e64 v8, |v5|, v8
	v_fma_f32 v7, v7, v8, |v5|
.LBB19_37:                              ;   in Loop: Header=BB19_17 Depth=1
	s_or_b32 exec_lo, exec_lo, s18
	v_cmp_ngt_f32_e64 s18, 0x3f200000, |v6|
                                        ; implicit-def: $vgpr8
	s_and_saveexec_b32 s19, s18
	s_xor_b32 s18, exec_lo, s19
	s_cbranch_execz .LBB19_39
; %bb.38:                               ;   in Loop: Header=BB19_17 Depth=1
	v_add_f32_e64 v8, |v6|, |v6|
	v_mul_f32_e32 v9, 0x3fb8aa3b, v8
	v_cmp_ngt_f32_e32 vcc_lo, 0xc2ce8ed0, v8
	v_rndne_f32_e32 v10, v9
	v_fma_f32 v11, 0x3fb8aa3b, v8, -v9
	v_sub_f32_e32 v9, v9, v10
	v_fmac_f32_e32 v11, 0x32a5705f, v8
	v_cvt_i32_f32_e32 v10, v10
	v_add_f32_e32 v9, v9, v11
	v_exp_f32_e32 v9, v9
	v_ldexp_f32 v9, v9, v10
	v_cndmask_b32_e32 v9, 0, v9, vcc_lo
	v_cmp_nlt_f32_e32 vcc_lo, 0x42b17218, v8
	v_cndmask_b32_e32 v8, 0x7f800000, v9, vcc_lo
	v_add_f32_e32 v8, 1.0, v8
	v_rcp_f32_e32 v8, v8
	v_fma_f32 v8, v8, -2.0, 1.0
.LBB19_39:                              ;   in Loop: Header=BB19_17 Depth=1
	s_andn2_saveexec_b32 s18, s18
	s_cbranch_execz .LBB19_41
; %bb.40:                               ;   in Loop: Header=BB19_17 Depth=1
	v_mul_f32_e32 v8, v6, v6
	v_fmaak_f32 v9, s15, v8, 0x3ca908c9
	v_fmaak_f32 v9, v8, v9, 0xbd5c1c4e
	;; [unrolled: 1-line block ×4, first 2 shown]
	v_mul_f32_e64 v9, |v6|, v9
	v_fma_f32 v8, v8, v9, |v6|
.LBB19_41:                              ;   in Loop: Header=BB19_17 Depth=1
	s_or_b32 exec_lo, exec_lo, s18
	v_bfi_b32 v5, 0x7fffffff, v7, v5
	v_bfi_b32 v6, 0x7fffffff, v8, v6
	v_cmp_ngt_f32_e64 s18, 0x3f200000, |v54|
                                        ; implicit-def: $vgpr76
	v_fma_f32 v73, s10, v5, v66
	v_fma_f32 v72, s10, v6, v65
	v_add_f32_e32 v5, 0x40051340, v73
	v_add_f32_e32 v6, 0x40051340, v72
	v_max3_f32 v5, v52, v5, v6
	ds_bpermute_b32 v6, v1, v5
	s_waitcnt lgkmcnt(0)
	v_max_f32_e32 v6, v6, v6
	v_max_f32_e32 v5, v5, v6
	ds_bpermute_b32 v6, v67, v5
	s_waitcnt lgkmcnt(0)
	v_max_f32_e32 v6, v6, v6
	v_max_f32_e32 v5, v5, v6
	;; [unrolled: 4-line block ×4, first 2 shown]
	ds_bpermute_b32 v75, v4, v74
	s_and_saveexec_b32 s19, s18
	s_xor_b32 s18, exec_lo, s19
	s_cbranch_execz .LBB19_43
; %bb.42:                               ;   in Loop: Header=BB19_17 Depth=1
	v_add_f32_e64 v5, |v54|, |v54|
	v_mul_f32_e32 v6, 0x3fb8aa3b, v5
	v_cmp_ngt_f32_e32 vcc_lo, 0xc2ce8ed0, v5
	v_rndne_f32_e32 v7, v6
	v_fma_f32 v8, 0x3fb8aa3b, v5, -v6
	v_sub_f32_e32 v6, v6, v7
	v_fmac_f32_e32 v8, 0x32a5705f, v5
	v_cvt_i32_f32_e32 v7, v7
	v_add_f32_e32 v6, v6, v8
	v_exp_f32_e32 v6, v6
	v_ldexp_f32 v6, v6, v7
	v_cndmask_b32_e32 v6, 0, v6, vcc_lo
	v_cmp_nlt_f32_e32 vcc_lo, 0x42b17218, v5
	v_cndmask_b32_e32 v5, 0x7f800000, v6, vcc_lo
	v_add_f32_e32 v5, 1.0, v5
	v_rcp_f32_e32 v5, v5
	v_fma_f32 v76, v5, -2.0, 1.0
.LBB19_43:                              ;   in Loop: Header=BB19_17 Depth=1
	s_andn2_saveexec_b32 s18, s18
	s_cbranch_execz .LBB19_45
; %bb.44:                               ;   in Loop: Header=BB19_17 Depth=1
	v_mul_f32_e32 v5, v54, v54
	v_fmaak_f32 v6, s15, v5, 0x3ca908c9
	v_fmaak_f32 v6, v5, v6, 0xbd5c1c4e
	;; [unrolled: 1-line block ×4, first 2 shown]
	v_mul_f32_e64 v6, |v54|, v6
	v_fma_f32 v76, v5, v6, |v54|
.LBB19_45:                              ;   in Loop: Header=BB19_17 Depth=1
	s_or_b32 exec_lo, exec_lo, s18
	v_cmp_ngt_f32_e64 s18, 0x3f200000, |v55|
                                        ; implicit-def: $vgpr77
	s_and_saveexec_b32 s19, s18
	s_xor_b32 s18, exec_lo, s19
	s_cbranch_execz .LBB19_47
; %bb.46:                               ;   in Loop: Header=BB19_17 Depth=1
	v_add_f32_e64 v5, |v55|, |v55|
	v_mul_f32_e32 v6, 0x3fb8aa3b, v5
	v_cmp_ngt_f32_e32 vcc_lo, 0xc2ce8ed0, v5
	v_rndne_f32_e32 v7, v6
	v_fma_f32 v8, 0x3fb8aa3b, v5, -v6
	v_sub_f32_e32 v6, v6, v7
	v_fmac_f32_e32 v8, 0x32a5705f, v5
	v_cvt_i32_f32_e32 v7, v7
	v_add_f32_e32 v6, v6, v8
	v_exp_f32_e32 v6, v6
	v_ldexp_f32 v6, v6, v7
	v_cndmask_b32_e32 v6, 0, v6, vcc_lo
	v_cmp_nlt_f32_e32 vcc_lo, 0x42b17218, v5
	v_cndmask_b32_e32 v5, 0x7f800000, v6, vcc_lo
	v_add_f32_e32 v5, 1.0, v5
	v_rcp_f32_e32 v5, v5
	v_fma_f32 v77, v5, -2.0, 1.0
.LBB19_47:                              ;   in Loop: Header=BB19_17 Depth=1
	s_andn2_saveexec_b32 s18, s18
	s_cbranch_execz .LBB19_49
; %bb.48:                               ;   in Loop: Header=BB19_17 Depth=1
	v_mul_f32_e32 v5, v55, v55
	v_fmaak_f32 v6, s15, v5, 0x3ca908c9
	v_fmaak_f32 v6, v5, v6, 0xbd5c1c4e
	;; [unrolled: 1-line block ×4, first 2 shown]
	v_mul_f32_e64 v6, |v55|, v6
	v_fma_f32 v77, v5, v6, |v55|
.LBB19_49:                              ;   in Loop: Header=BB19_17 Depth=1
	s_or_b32 exec_lo, exec_lo, s18
	s_mul_hi_i32 s19, s6, s8
	s_mul_i32 s18, s6, s8
	s_waitcnt lgkmcnt(0)
	s_lshl_b64 s[18:19], s[18:19], 2
	s_barrier
	s_add_u32 s18, s12, s18
	s_addc_u32 s19, s13, s19
	v_add_co_u32 v5, vcc_lo, s18, v19
	v_add_co_ci_u32_e64 v6, null, s19, v20, vcc_lo
	v_add_co_u32 v7, vcc_lo, s18, v21
	v_add_co_ci_u32_e64 v8, null, s19, v22, vcc_lo
	;; [unrolled: 2-line block ×4, first 2 shown]
	buffer_gl0_inv
	s_clause 0x1
	global_load_dwordx4 v[5:8], v[5:6], off
	global_load_dwordx4 v[9:12], v[9:10], off
	v_bfi_b32 v54, 0x7fffffff, v76, v54
	v_bfi_b32 v55, 0x7fffffff, v77, v55
	v_max_f32_e32 v3, v3, v3
	v_max_f32_e32 v2, v2, v2
	;; [unrolled: 1-line block ×3, first 2 shown]
	v_fmac_f32_e32 v66, s10, v54
	v_fmac_f32_e32 v65, s10, v55
	v_max_f32_e32 v76, v74, v74
	v_max_f32_e32 v77, v62, v62
	;; [unrolled: 1-line block ×3, first 2 shown]
	v_add_f32_e32 v54, 0x40051340, v66
	v_add_f32_e32 v55, 0x40051340, v65
	v_add_nc_u32_e32 v74, v32, v25
	v_add_nc_u32_e32 v61, 0x3000, v25
	;; [unrolled: 1-line block ×3, first 2 shown]
	s_or_b32 s18, s6, 32
	v_max3_f32 v54, v50, v54, v55
	s_mul_hi_i32 s19, s18, s8
	s_mul_i32 s18, s18, s8
	s_lshl_b64 s[18:19], s[18:19], 2
	ds_bpermute_b32 v55, v1, v54
	v_max_f32_e32 v1, v2, v3
	v_max_f32_e32 v3, v76, v75
	;; [unrolled: 1-line block ×3, first 2 shown]
	s_add_u32 s18, s12, s18
	s_addc_u32 s19, s13, s19
	v_sub_f32_e32 v68, v68, v1
	v_sub_f32_e32 v69, v69, v1
	;; [unrolled: 1-line block ×5, first 2 shown]
	v_mul_f32_e32 v75, 0x3fb8aa3b, v68
	v_mul_f32_e32 v76, 0x3fb8aa3b, v69
	;; [unrolled: 1-line block ×4, first 2 shown]
	v_sub_f32_e32 v53, v53, v2
	v_fma_f32 v83, 0x3fb8aa3b, v68, -v75
	v_rndne_f32_e32 v84, v75
	v_fma_f32 v85, 0x3fb8aa3b, v69, -v76
	v_rndne_f32_e32 v86, v76
	s_waitcnt lgkmcnt(0)
	v_max_f32_e32 v55, v55, v55
	v_fmac_f32_e32 v83, 0x32a5705f, v68
	v_sub_f32_e32 v75, v75, v84
	v_fma_f32 v87, 0x3fb8aa3b, v51, -v77
	v_rndne_f32_e32 v88, v77
	v_max_f32_e32 v54, v54, v55
	v_fmac_f32_e32 v85, 0x32a5705f, v69
	v_add_f32_e32 v75, v75, v83
	v_mul_f32_e32 v55, 0x3fb8aa3b, v71
	v_fma_f32 v89, 0x3fb8aa3b, v70, -v78
	ds_bpermute_b32 v67, v67, v54
	v_rndne_f32_e32 v90, v78
	v_fmac_f32_e32 v87, 0x32a5705f, v51
	v_sub_f32_e32 v77, v77, v88
	v_exp_f32_e32 v75, v75
	v_sub_f32_e32 v73, v73, v3
	v_mul_f32_e32 v79, 0x3fb8aa3b, v53
	v_fma_f32 v91, 0x3fb8aa3b, v71, -v55
	v_rndne_f32_e32 v92, v55
	v_cvt_i32_f32_e32 v84, v84
	v_fmac_f32_e32 v89, 0x32a5705f, v70
	v_sub_f32_e32 v78, v78, v90
	v_add_f32_e32 v77, v77, v87
	v_sub_f32_e32 v72, v72, v3
	v_mul_f32_e32 v80, 0x3fb8aa3b, v73
	v_fma_f32 v93, 0x3fb8aa3b, v53, -v79
	v_rndne_f32_e32 v94, v79
	v_fmac_f32_e32 v91, 0x32a5705f, v71
	v_sub_f32_e32 v55, v55, v92
	v_add_f32_e32 v78, v78, v89
	s_waitcnt lgkmcnt(0)
	v_max_f32_e32 v67, v67, v67
	v_exp_f32_e32 v77, v77
	v_ldexp_f32 v75, v75, v84
	v_cmp_ngt_f32_e32 vcc_lo, 0xc2ce8ed0, v68
	v_sub_f32_e32 v52, v52, v3
	v_max_f32_e32 v54, v54, v67
	v_sub_f32_e32 v67, v76, v86
	v_cvt_i32_f32_e32 v76, v86
	v_mul_f32_e32 v81, 0x3fb8aa3b, v72
	v_fma_f32 v95, 0x3fb8aa3b, v73, -v80
	ds_bpermute_b32 v64, v64, v54
	v_add_f32_e32 v67, v67, v85
	v_rndne_f32_e32 v96, v80
	v_cvt_i32_f32_e32 v86, v88
	v_fmac_f32_e32 v93, 0x32a5705f, v53
	v_sub_f32_e32 v79, v79, v94
	v_exp_f32_e32 v67, v67
	v_add_f32_e32 v55, v55, v91
	v_exp_f32_e32 v78, v78
	v_cndmask_b32_e32 v75, 0, v75, vcc_lo
	v_cmp_ngt_f32_e32 vcc_lo, 0xc2ce8ed0, v69
	v_mul_f32_e32 v82, 0x3fb8aa3b, v52
	v_fma_f32 v97, 0x3fb8aa3b, v72, -v81
	v_rndne_f32_e32 v98, v81
	v_cvt_i32_f32_e32 v88, v90
	v_fmac_f32_e32 v95, 0x32a5705f, v73
	v_ldexp_f32 v67, v67, v76
	v_sub_f32_e32 v80, v80, v96
	v_exp_f32_e32 v55, v55
	v_ldexp_f32 v76, v77, v86
	s_waitcnt lgkmcnt(0)
	v_max_f32_e32 v64, v64, v64
	v_cndmask_b32_e32 v67, 0, v67, vcc_lo
	v_cmp_ngt_f32_e32 vcc_lo, 0xc2ce8ed0, v51
	v_fma_f32 v99, 0x3fb8aa3b, v52, -v82
	v_rndne_f32_e32 v100, v82
	v_max_f32_e32 v54, v54, v64
	v_add_f32_e32 v64, v79, v93
	v_cvt_i32_f32_e32 v90, v92
	v_fmac_f32_e32 v97, 0x32a5705f, v72
	v_sub_f32_e32 v81, v81, v98
	ds_bpermute_b32 v63, v63, v54
	v_add_f32_e32 v79, v80, v95
	v_exp_f32_e32 v64, v64
	v_ldexp_f32 v77, v78, v88
	v_cvt_i32_f32_e32 v92, v94
	v_fmac_f32_e32 v99, 0x32a5705f, v52
	v_sub_f32_e32 v82, v82, v100
	v_add_f32_e32 v80, v81, v97
	v_exp_f32_e32 v79, v79
	v_ldexp_f32 v55, v55, v90
	v_cvt_i32_f32_e32 v94, v96
	v_add_f32_e32 v81, v82, v99
	v_exp_f32_e32 v80, v80
	v_ldexp_f32 v64, v64, v92
	v_cvt_i32_f32_e32 v96, v98
	v_cvt_i32_f32_e32 v82, v100
	v_exp_f32_e32 v81, v81
	v_ldexp_f32 v78, v79, v94
	s_waitcnt lgkmcnt(0)
	v_max_f32_e32 v63, v63, v63
	v_ldexp_f32 v79, v80, v96
	v_max_f32_e32 v54, v54, v63
	v_cndmask_b32_e32 v63, 0, v76, vcc_lo
	v_cmp_ngt_f32_e32 vcc_lo, 0xc2ce8ed0, v70
	v_ldexp_f32 v80, v81, v82
	ds_bpermute_b32 v4, v4, v54
	v_cndmask_b32_e32 v76, 0, v77, vcc_lo
	v_cmp_ngt_f32_e32 vcc_lo, 0xc2ce8ed0, v71
	v_cndmask_b32_e32 v55, 0, v55, vcc_lo
	v_cmp_ngt_f32_e32 vcc_lo, 0xc2ce8ed0, v53
	;; [unrolled: 2-line block ×4, first 2 shown]
	s_waitcnt lgkmcnt(0)
	v_max_f32_e32 v4, v4, v4
	v_cndmask_b32_e32 v78, 0, v79, vcc_lo
	v_cmp_ngt_f32_e32 vcc_lo, 0xc2ce8ed0, v52
	v_max_f32_e32 v4, v54, v4
	v_cndmask_b32_e32 v79, 0, v80, vcc_lo
	v_cmp_nlt_f32_e32 vcc_lo, 0x42b17218, v68
	v_sub_f32_e32 v65, v65, v4
	v_cndmask_b32_e32 v68, 0x7f800000, v75, vcc_lo
	v_cmp_nlt_f32_e32 vcc_lo, 0x42b17218, v69
	v_cndmask_b32_e32 v67, 0x7f800000, v67, vcc_lo
	v_cmp_nlt_f32_e32 vcc_lo, 0x42b17218, v51
	v_add_f32_e32 v54, v68, v67
	v_cndmask_b32_e32 v75, 0x7f800000, v63, vcc_lo
	v_cmp_nlt_f32_e32 vcc_lo, 0x42b17218, v70
	v_sub_f32_e32 v70, v50, v4
	v_cvt_f16_f32_e32 v67, v67
	v_fmac_f32_e32 v54, v49, v75
	v_cndmask_b32_e32 v69, 0x7f800000, v76, vcc_lo
	v_cmp_nlt_f32_e32 vcc_lo, 0x42b17218, v71
	v_cvt_f16_f32_e32 v71, v75
	v_cvt_f16_f32_e32 v81, v69
	v_cndmask_b32_e32 v55, 0x7f800000, v55, vcc_lo
	v_cmp_nlt_f32_e32 vcc_lo, 0x42b17218, v53
	v_mul_u32_u24_sdwa v110, v71, v37 dst_sel:DWORD dst_unused:UNUSED_PAD src0_sel:WORD_0 src1_sel:DWORD
	v_cndmask_b32_e32 v63, 0x7f800000, v64, vcc_lo
	v_sub_f32_e32 v64, v66, v4
	v_cmp_nlt_f32_e32 vcc_lo, 0x42b17218, v73
	v_cvt_f16_f32_e32 v66, v68
	v_mul_f32_e32 v68, 0x3fb8aa3b, v65
	v_pk_mul_f16 v48, v48, v110
	v_mul_f32_e32 v50, 0x3fb8aa3b, v64
	v_cndmask_b32_e32 v51, 0x7f800000, v77, vcc_lo
	v_cmp_nlt_f32_e32 vcc_lo, 0x42b17218, v72
	v_fma_f32 v77, 0x3fb8aa3b, v65, -v68
	v_mul_f32_e32 v72, 0x3fb8aa3b, v70
	v_fma_f32 v73, 0x3fb8aa3b, v64, -v50
	v_rndne_f32_e32 v76, v50
	v_cndmask_b32_e32 v53, 0x7f800000, v78, vcc_lo
	v_rndne_f32_e32 v78, v68
	v_fmac_f32_e32 v77, 0x32a5705f, v65
	v_fmac_f32_e32 v73, 0x32a5705f, v64
	v_sub_f32_e32 v50, v50, v76
	v_cmp_nlt_f32_e32 vcc_lo, 0x42b17218, v52
	v_sub_f32_e32 v68, v68, v78
	v_rndne_f32_e32 v80, v72
	v_cvt_i32_f32_e32 v76, v76
	v_add_f32_e32 v50, v50, v73
	v_cndmask_b32_e32 v52, 0x7f800000, v79, vcc_lo
	v_add_f32_e32 v68, v68, v77
	v_fma_f32 v79, 0x3fb8aa3b, v70, -v72
	v_sub_f32_e32 v72, v72, v80
	v_exp_f32_e32 v50, v50
	v_cvt_f16_f32_e32 v73, v55
	v_exp_f32_e32 v68, v68
	v_fmac_f32_e32 v79, 0x32a5705f, v70
	v_add_f32_e32 v55, v69, v55
	v_cvt_i32_f32_e32 v69, v78
	v_cmp_ngt_f32_e32 vcc_lo, 0xc2ce8ed0, v64
	v_cvt_f16_f32_e32 v77, v51
	v_add_f32_e32 v72, v72, v79
	v_cvt_f16_f32_e32 v79, v53
	v_ldexp_f32 v50, v50, v76
	v_pack_b32_f16 v66, v66, v81
	v_ldexp_f32 v68, v68, v69
	v_exp_f32_e32 v72, v72
	v_cvt_i32_f32_e32 v69, v80
	v_cndmask_b32_e32 v50, 0, v50, vcc_lo
	v_cmp_ngt_f32_e32 vcc_lo, 0xc2ce8ed0, v65
	v_cvt_f16_f32_e32 v78, v63
	v_cvt_f16_f32_e32 v76, v52
	v_fmac_f32_e32 v55, v46, v63
	v_cndmask_b32_e32 v68, 0, v68, vcc_lo
	v_cmp_nlt_f32_e32 vcc_lo, 0x42b17218, v64
	v_ldexp_f32 v69, v72, v69
	v_mul_u32_u24_sdwa v111, v78, v37 dst_sel:DWORD dst_unused:UNUSED_PAD src0_sel:WORD_0 src1_sel:DWORD
	v_mul_u32_u24_sdwa v112, v76, v37 dst_sel:DWORD dst_unused:UNUSED_PAD src0_sel:WORD_0 src1_sel:DWORD
	v_cndmask_b32_e32 v50, 0x7f800000, v50, vcc_lo
	v_cmp_nlt_f32_e32 vcc_lo, 0x42b17218, v65
	v_pk_mul_f16 v47, v47, v111
	v_pk_mul_f16 v45, v45, v112
	v_cndmask_b32_e32 v64, 0x7f800000, v68, vcc_lo
	v_cmp_ngt_f32_e32 vcc_lo, 0xc2ce8ed0, v70
	v_pack_b32_f16 v68, v67, v73
	v_cvt_f16_f32_e32 v72, v64
	v_cndmask_b32_e32 v65, 0, v69, vcc_lo
	v_cvt_f16_f32_e32 v69, v50
	v_cmp_nlt_f32_e32 vcc_lo, 0x42b17218, v70
	v_pack_b32_f16 v67, v77, v69
	v_pack_b32_f16 v69, v79, v72
	v_cndmask_b32_e32 v65, 0x7f800000, v65, vcc_lo
	ds_write2_b64 v74, v[66:67], v[68:69] offset1:32
	s_waitcnt vmcnt(1)
	ds_write_b128 v33, v[5:8]
	s_waitcnt vmcnt(0)
	ds_write_b128 v34, v[9:12]
	s_waitcnt lgkmcnt(0)
	s_barrier
	buffer_gl0_inv
	ds_read_b128 v[9:12], v32
	v_cvt_f16_f32_e32 v70, v65
	v_mul_u32_u24_sdwa v5, v70, v37 dst_sel:DWORD dst_unused:UNUSED_PAD src0_sel:WORD_0 src1_sel:DWORD
	v_pk_mul_f16 v42, v42, v5
	v_pk_mul_f16 v41, v41, v5
	ds_read_b128 v[66:69], v32 offset:16
	ds_read2_b64 v[70:73], v61 offset1:32
	ds_read_b128 v[74:77], v32 offset:32
	ds_read_b128 v[78:81], v32 offset:48
	ds_read_b128 v[82:85], v32 offset:64
	ds_read_b128 v[86:89], v32 offset:80
	ds_read2_b64 v[90:93], v61 offset0:64 offset1:96
	ds_read2_b64 v[94:97], v61 offset0:128 offset1:160
	;; [unrolled: 1-line block ×3, first 2 shown]
	ds_read2_b64 v[102:105], v62 offset1:32
	ds_read2_b64 v[106:109], v62 offset0:64 offset1:96
	ds_read2_b64 v[5:8], v62 offset0:128 offset1:160
	s_waitcnt lgkmcnt(12)
	v_mul_u32_u24_sdwa v49, v9, v37 dst_sel:DWORD dst_unused:UNUSED_PAD src0_sel:WORD_0 src1_sel:DWORD
	v_mul_u32_u24_sdwa v113, v9, v37 dst_sel:DWORD dst_unused:UNUSED_PAD src0_sel:WORD_1 src1_sel:DWORD
	v_mul_u32_u24_sdwa v114, v10, v37 dst_sel:DWORD dst_unused:UNUSED_PAD src0_sel:WORD_0 src1_sel:DWORD
	v_mul_u32_u24_sdwa v115, v10, v37 dst_sel:DWORD dst_unused:UNUSED_PAD src0_sel:WORD_1 src1_sel:DWORD
	v_mul_u32_u24_sdwa v116, v11, v37 dst_sel:DWORD dst_unused:UNUSED_PAD src0_sel:WORD_0 src1_sel:DWORD
	s_waitcnt lgkmcnt(10)
	v_pk_fma_f16 v48, v71, v49, v48
	v_pk_mul_f16 v49, v70, v49
	v_pk_fma_f16 v47, v71, v113, v47
	v_pk_mul_f16 v113, v70, v113
	v_pk_fma_f16 v42, v70, v115, v42
	v_pk_mul_f16 v70, v70, v114
	v_mul_u32_u24_sdwa v117, v11, v37 dst_sel:DWORD dst_unused:UNUSED_PAD src0_sel:WORD_1 src1_sel:DWORD
	v_mul_u32_u24_sdwa v118, v12, v37 dst_sel:DWORD dst_unused:UNUSED_PAD src0_sel:WORD_0 src1_sel:DWORD
	v_mul_u32_u24_sdwa v119, v12, v37 dst_sel:DWORD dst_unused:UNUSED_PAD src0_sel:WORD_1 src1_sel:DWORD
	v_pk_fma_f16 v40, v40, v110, v49
	v_pk_fma_f16 v39, v39, v111, v113
	v_pk_fma_f16 v38, v38, v112, v70
	v_pk_fma_f16 v41, v71, v115, v41
	v_pk_fma_f16 v45, v71, v114, v45
	v_mul_u32_u24_sdwa v120, v66, v37 dst_sel:DWORD dst_unused:UNUSED_PAD src0_sel:WORD_0 src1_sel:DWORD
	v_mul_u32_u24_sdwa v121, v66, v37 dst_sel:DWORD dst_unused:UNUSED_PAD src0_sel:WORD_1 src1_sel:DWORD
	v_mul_u32_u24_sdwa v122, v67, v37 dst_sel:DWORD dst_unused:UNUSED_PAD src0_sel:WORD_0 src1_sel:DWORD
	v_mul_u32_u24_sdwa v123, v67, v37 dst_sel:DWORD dst_unused:UNUSED_PAD src0_sel:WORD_1 src1_sel:DWORD
	v_pk_fma_f16 v42, v72, v119, v42
	v_pk_fma_f16 v48, v73, v116, v48
	v_pk_fma_f16 v47, v73, v117, v47
	v_pk_fma_f16 v40, v72, v116, v40
	v_pk_fma_f16 v39, v72, v117, v39
	v_pk_fma_f16 v38, v72, v118, v38
	v_pk_fma_f16 v41, v73, v119, v41
	v_pk_fma_f16 v45, v73, v118, v45
	v_mul_u32_u24_sdwa v124, v68, v37 dst_sel:DWORD dst_unused:UNUSED_PAD src0_sel:WORD_0 src1_sel:DWORD
	v_mul_u32_u24_sdwa v125, v68, v37 dst_sel:DWORD dst_unused:UNUSED_PAD src0_sel:WORD_1 src1_sel:DWORD
	v_mul_u32_u24_sdwa v126, v69, v37 dst_sel:DWORD dst_unused:UNUSED_PAD src0_sel:WORD_0 src1_sel:DWORD
	v_mul_u32_u24_sdwa v127, v69, v37 dst_sel:DWORD dst_unused:UNUSED_PAD src0_sel:WORD_1 src1_sel:DWORD
	s_waitcnt lgkmcnt(5)
	v_pk_fma_f16 v42, v90, v123, v42
	v_pk_fma_f16 v48, v91, v120, v48
	v_pk_fma_f16 v47, v91, v121, v47
	v_pk_fma_f16 v40, v90, v120, v40
	v_pk_fma_f16 v39, v90, v121, v39
	v_pk_fma_f16 v38, v90, v122, v38
	v_pk_fma_f16 v41, v91, v123, v41
	v_pk_fma_f16 v45, v91, v122, v45
	v_mul_u32_u24_sdwa v128, v74, v37 dst_sel:DWORD dst_unused:UNUSED_PAD src0_sel:WORD_0 src1_sel:DWORD
	v_mul_u32_u24_sdwa v74, v74, v37 dst_sel:DWORD dst_unused:UNUSED_PAD src0_sel:WORD_1 src1_sel:DWORD
	v_mul_u32_u24_sdwa v129, v75, v37 dst_sel:DWORD dst_unused:UNUSED_PAD src0_sel:WORD_0 src1_sel:DWORD
	v_mul_u32_u24_sdwa v75, v75, v37 dst_sel:DWORD dst_unused:UNUSED_PAD src0_sel:WORD_1 src1_sel:DWORD
	v_pk_fma_f16 v42, v92, v127, v42
	v_pk_fma_f16 v48, v93, v124, v48
	v_pk_fma_f16 v47, v93, v125, v47
	v_pk_fma_f16 v40, v92, v124, v40
	v_pk_fma_f16 v39, v92, v125, v39
	v_pk_fma_f16 v38, v92, v126, v38
	v_pk_fma_f16 v41, v93, v127, v41
	v_pk_fma_f16 v45, v93, v126, v45
	v_mul_u32_u24_sdwa v130, v76, v37 dst_sel:DWORD dst_unused:UNUSED_PAD src0_sel:WORD_0 src1_sel:DWORD
	v_mul_u32_u24_sdwa v76, v76, v37 dst_sel:DWORD dst_unused:UNUSED_PAD src0_sel:WORD_1 src1_sel:DWORD
	v_mul_u32_u24_sdwa v131, v77, v37 dst_sel:DWORD dst_unused:UNUSED_PAD src0_sel:WORD_0 src1_sel:DWORD
	v_mul_u32_u24_sdwa v77, v77, v37 dst_sel:DWORD dst_unused:UNUSED_PAD src0_sel:WORD_1 src1_sel:DWORD
	s_waitcnt lgkmcnt(4)
	v_pk_fma_f16 v42, v94, v75, v42
	v_pk_fma_f16 v48, v95, v128, v48
	v_pk_fma_f16 v47, v95, v74, v47
	;; [unrolled: 25-line block ×3, first 2 shown]
	v_pk_fma_f16 v40, v98, v132, v40
	v_pk_fma_f16 v39, v98, v78, v39
	;; [unrolled: 1-line block ×5, first 2 shown]
	v_mul_u32_u24_sdwa v136, v82, v37 dst_sel:DWORD dst_unused:UNUSED_PAD src0_sel:WORD_0 src1_sel:DWORD
	v_mul_u32_u24_sdwa v82, v82, v37 dst_sel:DWORD dst_unused:UNUSED_PAD src0_sel:WORD_1 src1_sel:DWORD
	v_mul_u32_u24_sdwa v137, v83, v37 dst_sel:DWORD dst_unused:UNUSED_PAD src0_sel:WORD_0 src1_sel:DWORD
	v_mul_u32_u24_sdwa v83, v83, v37 dst_sel:DWORD dst_unused:UNUSED_PAD src0_sel:WORD_1 src1_sel:DWORD
	v_pk_fma_f16 v42, v100, v81, v42
	v_pk_fma_f16 v48, v101, v134, v48
	;; [unrolled: 1-line block ×6, first 2 shown]
	ds_read_b128 v[9:12], v32 offset:96
	ds_read_b128 v[66:69], v32 offset:112
	v_pk_fma_f16 v45, v101, v135, v45
	v_pk_fma_f16 v41, v101, v81, v41
	v_mul_u32_u24_sdwa v138, v84, v37 dst_sel:DWORD dst_unused:UNUSED_PAD src0_sel:WORD_0 src1_sel:DWORD
	v_mul_u32_u24_sdwa v84, v84, v37 dst_sel:DWORD dst_unused:UNUSED_PAD src0_sel:WORD_1 src1_sel:DWORD
	v_mul_u32_u24_sdwa v139, v85, v37 dst_sel:DWORD dst_unused:UNUSED_PAD src0_sel:WORD_0 src1_sel:DWORD
	v_mul_u32_u24_sdwa v85, v85, v37 dst_sel:DWORD dst_unused:UNUSED_PAD src0_sel:WORD_1 src1_sel:DWORD
	s_waitcnt lgkmcnt(4)
	v_pk_fma_f16 v42, v102, v83, v42
	v_pk_fma_f16 v48, v103, v136, v48
	;; [unrolled: 1-line block ×8, first 2 shown]
	v_mul_u32_u24_sdwa v140, v86, v37 dst_sel:DWORD dst_unused:UNUSED_PAD src0_sel:WORD_0 src1_sel:DWORD
	v_mul_u32_u24_sdwa v86, v86, v37 dst_sel:DWORD dst_unused:UNUSED_PAD src0_sel:WORD_1 src1_sel:DWORD
	v_mul_u32_u24_sdwa v141, v87, v37 dst_sel:DWORD dst_unused:UNUSED_PAD src0_sel:WORD_0 src1_sel:DWORD
	v_mul_u32_u24_sdwa v87, v87, v37 dst_sel:DWORD dst_unused:UNUSED_PAD src0_sel:WORD_1 src1_sel:DWORD
	v_pk_fma_f16 v42, v104, v85, v42
	v_pk_fma_f16 v48, v105, v138, v48
	;; [unrolled: 1-line block ×8, first 2 shown]
	v_mul_u32_u24_sdwa v142, v88, v37 dst_sel:DWORD dst_unused:UNUSED_PAD src0_sel:WORD_0 src1_sel:DWORD
	v_mul_u32_u24_sdwa v88, v88, v37 dst_sel:DWORD dst_unused:UNUSED_PAD src0_sel:WORD_1 src1_sel:DWORD
	v_mul_u32_u24_sdwa v143, v89, v37 dst_sel:DWORD dst_unused:UNUSED_PAD src0_sel:WORD_0 src1_sel:DWORD
	v_mul_u32_u24_sdwa v89, v89, v37 dst_sel:DWORD dst_unused:UNUSED_PAD src0_sel:WORD_1 src1_sel:DWORD
	s_waitcnt lgkmcnt(3)
	v_pk_fma_f16 v42, v106, v87, v42
	v_pk_fma_f16 v48, v107, v140, v48
	;; [unrolled: 1-line block ×14, first 2 shown]
	s_waitcnt lgkmcnt(1)
	v_mul_u32_u24_sdwa v49, v9, v37 dst_sel:DWORD dst_unused:UNUSED_PAD src0_sel:WORD_0 src1_sel:DWORD
	v_mul_u32_u24_sdwa v9, v9, v37 dst_sel:DWORD dst_unused:UNUSED_PAD src0_sel:WORD_1 src1_sel:DWORD
	v_mul_u32_u24_sdwa v70, v10, v37 dst_sel:DWORD dst_unused:UNUSED_PAD src0_sel:WORD_0 src1_sel:DWORD
	v_mul_u32_u24_sdwa v10, v10, v37 dst_sel:DWORD dst_unused:UNUSED_PAD src0_sel:WORD_1 src1_sel:DWORD
	v_pk_fma_f16 v45, v109, v143, v45
	v_pk_fma_f16 v71, v109, v89, v41
	;; [unrolled: 1-line block ×8, first 2 shown]
	v_mul_u32_u24_sdwa v48, v11, v37 dst_sel:DWORD dst_unused:UNUSED_PAD src0_sel:WORD_0 src1_sel:DWORD
	v_mul_u32_u24_sdwa v11, v11, v37 dst_sel:DWORD dst_unused:UNUSED_PAD src0_sel:WORD_1 src1_sel:DWORD
	v_pk_fma_f16 v45, v6, v70, v45
	v_pk_fma_f16 v6, v6, v10, v71
	v_add_co_u32 v10, vcc_lo, s18, v19
	v_pk_fma_f16 v144, v7, v11, v73
	v_pk_fma_f16 v146, v8, v11, v47
	v_add_co_ci_u32_e64 v11, null, s19, v20, vcc_lo
	v_add_co_u32 v47, vcc_lo, s18, v21
	v_pk_fma_f16 v143, v7, v48, v72
	v_pk_fma_f16 v145, v8, v48, v5
	v_add_co_ci_u32_e64 v48, null, s19, v22, vcc_lo
	v_add_co_u32 v10, vcc_lo, v10, v36
	v_add_co_ci_u32_e64 v11, null, 0, v11, vcc_lo
	v_add_co_u32 v47, vcc_lo, v47, v36
	v_add_nc_u32_e32 v9, 0x4000, v25
	v_add_nc_u32_e32 v5, 0x4800, v25
	v_add_co_ci_u32_e64 v48, null, 0, v48, vcc_lo
	ds_read2_b64 v[38:41], v62 offset0:192 offset1:224
	ds_read2_b64 v[70:73], v9 offset1:32
	ds_read_b128 v[74:77], v32 offset:128
	ds_read_b128 v[78:81], v32 offset:144
	ds_read2_b64 v[82:85], v9 offset0:64 offset1:96
	ds_read2_b64 v[86:89], v9 offset0:128 offset1:160
	;; [unrolled: 1-line block ×3, first 2 shown]
	ds_read_b128 v[94:97], v32 offset:160
	ds_read_b128 v[98:101], v32 offset:176
	ds_read2_b64 v[102:105], v5 offset1:32
	ds_read2_b64 v[106:109], v5 offset0:64 offset1:96
	ds_read_b128 v[110:113], v32 offset:192
	ds_read_b128 v[114:117], v32 offset:208
	ds_read2_b64 v[118:121], v5 offset0:128 offset1:160
	ds_read2_b64 v[122:125], v5 offset0:192 offset1:224
	ds_read_b128 v[126:129], v32 offset:224
	ds_read_b128 v[130:133], v32 offset:240
	s_waitcnt lgkmcnt(0)
	s_barrier
	buffer_gl0_inv
	s_clause 0x1
	global_load_dwordx4 v[134:137], v[10:11], off
	global_load_dwordx4 v[138:141], v[47:48], off
	v_mul_u32_u24_sdwa v49, v12, v37 dst_sel:DWORD dst_unused:UNUSED_PAD src0_sel:WORD_0 src1_sel:DWORD
	v_mul_u32_u24_sdwa v12, v12, v37 dst_sel:DWORD dst_unused:UNUSED_PAD src0_sel:WORD_1 src1_sel:DWORD
	v_mul_u32_u24_sdwa v48, v69, v37 dst_sel:DWORD dst_unused:UNUSED_PAD src0_sel:WORD_0 src1_sel:DWORD
	s_waitcnt vmcnt(1)
	ds_write_b128 v33, v[134:137]
	s_waitcnt vmcnt(0)
	ds_write_b128 v34, v[138:141]
	v_pk_fma_f16 v10, v7, v49, v142
	v_pk_fma_f16 v7, v7, v12, v42
	;; [unrolled: 1-line block ×3, first 2 shown]
	v_mul_u32_u24_sdwa v42, v66, v37 dst_sel:DWORD dst_unused:UNUSED_PAD src0_sel:WORD_0 src1_sel:DWORD
	v_pk_fma_f16 v6, v8, v12, v6
	v_mul_u32_u24_sdwa v8, v66, v37 dst_sel:DWORD dst_unused:UNUSED_PAD src0_sel:WORD_1 src1_sel:DWORD
	v_mul_u32_u24_sdwa v12, v67, v37 dst_sel:DWORD dst_unused:UNUSED_PAD src0_sel:WORD_0 src1_sel:DWORD
	v_mul_u32_u24_sdwa v45, v67, v37 dst_sel:DWORD dst_unused:UNUSED_PAD src0_sel:WORD_1 src1_sel:DWORD
	v_pk_fma_f16 v46, v38, v42, v143
	v_mul_u32_u24_sdwa v49, v69, v37 dst_sel:DWORD dst_unused:UNUSED_PAD src0_sel:WORD_1 src1_sel:DWORD
	v_pk_fma_f16 v47, v38, v8, v144
	v_pk_fma_f16 v10, v38, v12, v10
	;; [unrolled: 1-line block ×5, first 2 shown]
	v_mul_u32_u24_sdwa v12, v68, v37 dst_sel:DWORD dst_unused:UNUSED_PAD src0_sel:WORD_0 src1_sel:DWORD
	v_mul_u32_u24_sdwa v42, v68, v37 dst_sel:DWORD dst_unused:UNUSED_PAD src0_sel:WORD_1 src1_sel:DWORD
	v_pk_fma_f16 v8, v39, v8, v146
	v_pk_fma_f16 v6, v39, v45, v6
	;; [unrolled: 1-line block ×6, first 2 shown]
	v_mul_u32_u24_sdwa v40, v74, v37 dst_sel:DWORD dst_unused:UNUSED_PAD src0_sel:WORD_1 src1_sel:DWORD
	v_mul_u32_u24_sdwa v46, v75, v37 dst_sel:DWORD dst_unused:UNUSED_PAD src0_sel:WORD_1 src1_sel:DWORD
	v_pk_fma_f16 v12, v41, v12, v38
	v_pk_fma_f16 v8, v41, v42, v8
	;; [unrolled: 1-line block ×3, first 2 shown]
	v_mul_u32_u24_sdwa v38, v74, v37 dst_sel:DWORD dst_unused:UNUSED_PAD src0_sel:WORD_0 src1_sel:DWORD
	v_mul_u32_u24_sdwa v42, v75, v37 dst_sel:DWORD dst_unused:UNUSED_PAD src0_sel:WORD_0 src1_sel:DWORD
	v_pk_fma_f16 v6, v41, v49, v6
	v_pk_fma_f16 v41, v70, v40, v45
	;; [unrolled: 1-line block ×3, first 2 shown]
	v_mul_u32_u24_sdwa v45, v77, v37 dst_sel:DWORD dst_unused:UNUSED_PAD src0_sel:WORD_1 src1_sel:DWORD
	v_pk_fma_f16 v39, v70, v38, v39
	v_pk_fma_f16 v10, v70, v42, v10
	;; [unrolled: 1-line block ×5, first 2 shown]
	v_mul_u32_u24_sdwa v38, v76, v37 dst_sel:DWORD dst_unused:UNUSED_PAD src0_sel:WORD_0 src1_sel:DWORD
	v_mul_u32_u24_sdwa v40, v76, v37 dst_sel:DWORD dst_unused:UNUSED_PAD src0_sel:WORD_1 src1_sel:DWORD
	v_mul_u32_u24_sdwa v42, v77, v37 dst_sel:DWORD dst_unused:UNUSED_PAD src0_sel:WORD_0 src1_sel:DWORD
	v_pk_fma_f16 v6, v71, v46, v6
	v_pk_fma_f16 v7, v72, v45, v7
	v_mul_u32_u24_sdwa v46, v79, v37 dst_sel:DWORD dst_unused:UNUSED_PAD src0_sel:WORD_1 src1_sel:DWORD
	v_pk_fma_f16 v39, v72, v38, v39
	v_pk_fma_f16 v41, v72, v40, v41
	;; [unrolled: 1-line block ×6, first 2 shown]
	v_mul_u32_u24_sdwa v38, v78, v37 dst_sel:DWORD dst_unused:UNUSED_PAD src0_sel:WORD_0 src1_sel:DWORD
	v_mul_u32_u24_sdwa v40, v78, v37 dst_sel:DWORD dst_unused:UNUSED_PAD src0_sel:WORD_1 src1_sel:DWORD
	v_mul_u32_u24_sdwa v42, v79, v37 dst_sel:DWORD dst_unused:UNUSED_PAD src0_sel:WORD_0 src1_sel:DWORD
	v_pk_fma_f16 v6, v73, v45, v6
	v_mul_u32_u24_sdwa v45, v81, v37 dst_sel:DWORD dst_unused:UNUSED_PAD src0_sel:WORD_1 src1_sel:DWORD
	v_pk_fma_f16 v7, v82, v46, v7
	v_pk_fma_f16 v39, v82, v38, v39
	;; [unrolled: 1-line block ×7, first 2 shown]
	v_mul_u32_u24_sdwa v38, v80, v37 dst_sel:DWORD dst_unused:UNUSED_PAD src0_sel:WORD_0 src1_sel:DWORD
	v_mul_u32_u24_sdwa v40, v80, v37 dst_sel:DWORD dst_unused:UNUSED_PAD src0_sel:WORD_1 src1_sel:DWORD
	v_mul_u32_u24_sdwa v42, v81, v37 dst_sel:DWORD dst_unused:UNUSED_PAD src0_sel:WORD_0 src1_sel:DWORD
	v_pk_fma_f16 v6, v83, v46, v6
	v_pk_fma_f16 v46, v84, v45, v7
	v_add_f32_e32 v7, v51, v53
	v_pk_fma_f16 v39, v84, v38, v39
	v_pk_fma_f16 v41, v84, v40, v41
	;; [unrolled: 1-line block ×6, first 2 shown]
	v_fmac_f32_e32 v7, v44, v52
	v_mul_u32_u24_sdwa v40, v94, v37 dst_sel:DWORD dst_unused:UNUSED_PAD src0_sel:WORD_0 src1_sel:DWORD
	v_mul_u32_u24_sdwa v42, v94, v37 dst_sel:DWORD dst_unused:UNUSED_PAD src0_sel:WORD_1 src1_sel:DWORD
	v_mul_u32_u24_sdwa v44, v95, v37 dst_sel:DWORD dst_unused:UNUSED_PAD src0_sel:WORD_0 src1_sel:DWORD
	v_pk_fma_f16 v38, v85, v45, v6
	v_add_f32_e32 v6, v50, v64
	v_mul_u32_u24_sdwa v45, v95, v37 dst_sel:DWORD dst_unused:UNUSED_PAD src0_sel:WORD_1 src1_sel:DWORD
	v_pk_fma_f16 v39, v86, v40, v39
	v_pk_fma_f16 v41, v86, v42, v41
	;; [unrolled: 1-line block ×6, first 2 shown]
	v_mul_u32_u24_sdwa v40, v96, v37 dst_sel:DWORD dst_unused:UNUSED_PAD src0_sel:WORD_0 src1_sel:DWORD
	v_mul_u32_u24_sdwa v42, v96, v37 dst_sel:DWORD dst_unused:UNUSED_PAD src0_sel:WORD_1 src1_sel:DWORD
	v_mul_u32_u24_sdwa v44, v97, v37 dst_sel:DWORD dst_unused:UNUSED_PAD src0_sel:WORD_0 src1_sel:DWORD
	v_fmac_f32_e32 v6, v43, v65
	v_pk_fma_f16 v43, v86, v45, v46
	v_mul_u32_u24_sdwa v46, v97, v37 dst_sel:DWORD dst_unused:UNUSED_PAD src0_sel:WORD_1 src1_sel:DWORD
	v_pk_fma_f16 v38, v87, v45, v38
	v_pk_fma_f16 v39, v88, v40, v39
	v_pk_fma_f16 v41, v88, v42, v41
	v_pk_fma_f16 v10, v88, v44, v10
	v_pk_fma_f16 v12, v89, v40, v12
	v_pk_fma_f16 v8, v89, v42, v8
	v_pk_fma_f16 v11, v89, v44, v11
	v_mul_u32_u24_sdwa v40, v98, v37 dst_sel:DWORD dst_unused:UNUSED_PAD src0_sel:WORD_0 src1_sel:DWORD
	v_mul_u32_u24_sdwa v42, v98, v37 dst_sel:DWORD dst_unused:UNUSED_PAD src0_sel:WORD_1 src1_sel:DWORD
	v_mul_u32_u24_sdwa v44, v99, v37 dst_sel:DWORD dst_unused:UNUSED_PAD src0_sel:WORD_0 src1_sel:DWORD
	v_pk_fma_f16 v43, v88, v46, v43
	v_mul_u32_u24_sdwa v45, v99, v37 dst_sel:DWORD dst_unused:UNUSED_PAD src0_sel:WORD_1 src1_sel:DWORD
	v_pk_fma_f16 v38, v89, v46, v38
	v_pk_fma_f16 v39, v90, v40, v39
	v_pk_fma_f16 v41, v90, v42, v41
	v_pk_fma_f16 v10, v90, v44, v10
	v_pk_fma_f16 v12, v91, v40, v12
	v_pk_fma_f16 v8, v91, v42, v8
	v_pk_fma_f16 v11, v91, v44, v11
	v_mul_u32_u24_sdwa v40, v100, v37 dst_sel:DWORD dst_unused:UNUSED_PAD src0_sel:WORD_0 src1_sel:DWORD
	v_mul_u32_u24_sdwa v42, v100, v37 dst_sel:DWORD dst_unused:UNUSED_PAD src0_sel:WORD_1 src1_sel:DWORD
	v_mul_u32_u24_sdwa v44, v101, v37 dst_sel:DWORD dst_unused:UNUSED_PAD src0_sel:WORD_0 src1_sel:DWORD
	;; [unrolled: 12-line block ×8, first 2 shown]
	v_pk_fma_f16 v43, v118, v45, v43
	v_mul_u32_u24_sdwa v46, v129, v37 dst_sel:DWORD dst_unused:UNUSED_PAD src0_sel:WORD_1 src1_sel:DWORD
	v_pk_fma_f16 v38, v119, v45, v38
	v_pk_fma_f16 v39, v120, v40, v39
	;; [unrolled: 1-line block ×6, first 2 shown]
	v_mul_u32_u24_sdwa v42, v130, v37 dst_sel:DWORD dst_unused:UNUSED_PAD src0_sel:WORD_0 src1_sel:DWORD
	v_mul_u32_u24_sdwa v44, v130, v37 dst_sel:DWORD dst_unused:UNUSED_PAD src0_sel:WORD_1 src1_sel:DWORD
	v_pk_fma_f16 v43, v120, v46, v43
	v_pk_fma_f16 v12, v121, v40, v12
	v_mul_u32_u24_sdwa v45, v131, v37 dst_sel:DWORD dst_unused:UNUSED_PAD src0_sel:WORD_0 src1_sel:DWORD
	v_pk_fma_f16 v46, v121, v46, v38
	v_mul_u32_u24_sdwa v47, v131, v37 dst_sel:DWORD dst_unused:UNUSED_PAD src0_sel:WORD_1 src1_sel:DWORD
	v_pk_fma_f16 v48, v122, v42, v39
	v_pk_fma_f16 v49, v122, v44, v41
	s_waitcnt lgkmcnt(0)
	s_barrier
	buffer_gl0_inv
	ds_read_b128 v[38:41], v32 offset:256
	v_pk_fma_f16 v10, v122, v45, v10
	v_pk_fma_f16 v50, v122, v47, v43
	;; [unrolled: 1-line block ×5, first 2 shown]
	ds_read2_b64 v[42:45], v61 offset1:32
	v_mul_u32_u24_sdwa v51, v132, v37 dst_sel:DWORD dst_unused:UNUSED_PAD src0_sel:WORD_0 src1_sel:DWORD
	v_mul_u32_u24_sdwa v52, v132, v37 dst_sel:DWORD dst_unused:UNUSED_PAD src0_sel:WORD_1 src1_sel:DWORD
	v_mul_u32_u24_sdwa v53, v133, v37 dst_sel:DWORD dst_unused:UNUSED_PAD src0_sel:WORD_0 src1_sel:DWORD
	v_mul_u32_u24_sdwa v63, v133, v37 dst_sel:DWORD dst_unused:UNUSED_PAD src0_sel:WORD_1 src1_sel:DWORD
	v_pk_fma_f16 v46, v123, v47, v46
	v_pk_fma_f16 v67, v124, v51, v48
	;; [unrolled: 1-line block ×7, first 2 shown]
	ds_read_b128 v[46:49], v32 offset:272
	v_pk_fma_f16 v8, v125, v52, v8
	s_waitcnt lgkmcnt(2)
	v_mul_u32_u24_sdwa v70, v38, v37 dst_sel:DWORD dst_unused:UNUSED_PAD src0_sel:WORD_0 src1_sel:DWORD
	v_mul_u32_u24_sdwa v38, v38, v37 dst_sel:DWORD dst_unused:UNUSED_PAD src0_sel:WORD_1 src1_sel:DWORD
	v_mul_u32_u24_sdwa v72, v39, v37 dst_sel:DWORD dst_unused:UNUSED_PAD src0_sel:WORD_0 src1_sel:DWORD
	v_mul_u32_u24_sdwa v39, v39, v37 dst_sel:DWORD dst_unused:UNUSED_PAD src0_sel:WORD_1 src1_sel:DWORD
	v_pk_fma_f16 v11, v125, v53, v11
	ds_read_b128 v[50:53], v32 offset:288
	ds_read_b128 v[63:66], v32 offset:304
	s_waitcnt lgkmcnt(3)
	v_pk_fma_f16 v73, v42, v70, v67
	v_pk_fma_f16 v74, v42, v38, v68
	;; [unrolled: 1-line block ×5, first 2 shown]
	ds_read2_b64 v[67:70], v61 offset0:64 offset1:96
	v_pk_fma_f16 v8, v43, v38, v8
	v_mul_u32_u24_sdwa v38, v40, v37 dst_sel:DWORD dst_unused:UNUSED_PAD src0_sel:WORD_0 src1_sel:DWORD
	v_pk_fma_f16 v11, v43, v72, v11
	v_mul_u32_u24_sdwa v40, v40, v37 dst_sel:DWORD dst_unused:UNUSED_PAD src0_sel:WORD_1 src1_sel:DWORD
	v_mul_u32_u24_sdwa v72, v41, v37 dst_sel:DWORD dst_unused:UNUSED_PAD src0_sel:WORD_0 src1_sel:DWORD
	v_mul_u32_u24_sdwa v41, v41, v37 dst_sel:DWORD dst_unused:UNUSED_PAD src0_sel:WORD_1 src1_sel:DWORD
	v_pk_fma_f16 v39, v43, v39, v71
	v_pk_fma_f16 v43, v44, v38, v73
	;; [unrolled: 1-line block ×3, first 2 shown]
	s_waitcnt lgkmcnt(3)
	v_mul_u32_u24_sdwa v38, v46, v37 dst_sel:DWORD dst_unused:UNUSED_PAD src0_sel:WORD_0 src1_sel:DWORD
	v_pk_fma_f16 v71, v44, v40, v74
	v_pk_fma_f16 v42, v44, v41, v42
	;; [unrolled: 1-line block ×6, first 2 shown]
	v_mul_u32_u24_sdwa v44, v46, v37 dst_sel:DWORD dst_unused:UNUSED_PAD src0_sel:WORD_1 src1_sel:DWORD
	v_mul_u32_u24_sdwa v46, v47, v37 dst_sel:DWORD dst_unused:UNUSED_PAD src0_sel:WORD_0 src1_sel:DWORD
	v_mul_u32_u24_sdwa v47, v47, v37 dst_sel:DWORD dst_unused:UNUSED_PAD src0_sel:WORD_1 src1_sel:DWORD
	s_waitcnt lgkmcnt(0)
	v_pk_fma_f16 v43, v67, v38, v43
	v_pk_fma_f16 v12, v68, v38, v12
	ds_read2_b64 v[38:41], v61 offset0:128 offset1:160
	v_pk_fma_f16 v71, v67, v44, v71
	v_pk_fma_f16 v10, v67, v46, v10
	;; [unrolled: 1-line block ×5, first 2 shown]
	v_mul_u32_u24_sdwa v44, v48, v37 dst_sel:DWORD dst_unused:UNUSED_PAD src0_sel:WORD_0 src1_sel:DWORD
	v_mul_u32_u24_sdwa v46, v48, v37 dst_sel:DWORD dst_unused:UNUSED_PAD src0_sel:WORD_1 src1_sel:DWORD
	v_mul_u32_u24_sdwa v48, v49, v37 dst_sel:DWORD dst_unused:UNUSED_PAD src0_sel:WORD_0 src1_sel:DWORD
	v_mul_u32_u24_sdwa v49, v49, v37 dst_sel:DWORD dst_unused:UNUSED_PAD src0_sel:WORD_1 src1_sel:DWORD
	v_pk_fma_f16 v45, v68, v47, v45
	v_pk_fma_f16 v43, v69, v44, v43
	;; [unrolled: 1-line block ×8, first 2 shown]
	v_mul_u32_u24_sdwa v44, v50, v37 dst_sel:DWORD dst_unused:UNUSED_PAD src0_sel:WORD_0 src1_sel:DWORD
	v_mul_u32_u24_sdwa v46, v50, v37 dst_sel:DWORD dst_unused:UNUSED_PAD src0_sel:WORD_1 src1_sel:DWORD
	v_mul_u32_u24_sdwa v48, v51, v37 dst_sel:DWORD dst_unused:UNUSED_PAD src0_sel:WORD_0 src1_sel:DWORD
	v_mul_u32_u24_sdwa v50, v51, v37 dst_sel:DWORD dst_unused:UNUSED_PAD src0_sel:WORD_1 src1_sel:DWORD
	v_pk_fma_f16 v49, v70, v49, v45
	s_waitcnt lgkmcnt(0)
	v_pk_fma_f16 v51, v38, v44, v43
	v_pk_fma_f16 v47, v38, v46, v47
	v_pk_fma_f16 v10, v38, v48, v10
	v_pk_fma_f16 v38, v38, v50, v42
	v_pk_fma_f16 v12, v39, v44, v12
	ds_read2_b64 v[42:45], v61 offset0:192 offset1:224
	v_pk_fma_f16 v8, v39, v46, v8
	v_pk_fma_f16 v11, v39, v48, v11
	v_mul_u32_u24_sdwa v46, v52, v37 dst_sel:DWORD dst_unused:UNUSED_PAD src0_sel:WORD_0 src1_sel:DWORD
	v_mul_u32_u24_sdwa v48, v52, v37 dst_sel:DWORD dst_unused:UNUSED_PAD src0_sel:WORD_1 src1_sel:DWORD
	v_mul_u32_u24_sdwa v52, v53, v37 dst_sel:DWORD dst_unused:UNUSED_PAD src0_sel:WORD_0 src1_sel:DWORD
	v_mul_u32_u24_sdwa v53, v53, v37 dst_sel:DWORD dst_unused:UNUSED_PAD src0_sel:WORD_1 src1_sel:DWORD
	v_pk_fma_f16 v39, v39, v50, v49
	v_pk_fma_f16 v49, v40, v46, v51
	;; [unrolled: 1-line block ×8, first 2 shown]
	v_mul_u32_u24_sdwa v46, v63, v37 dst_sel:DWORD dst_unused:UNUSED_PAD src0_sel:WORD_0 src1_sel:DWORD
	v_mul_u32_u24_sdwa v48, v63, v37 dst_sel:DWORD dst_unused:UNUSED_PAD src0_sel:WORD_1 src1_sel:DWORD
	v_pk_fma_f16 v51, v41, v53, v39
	ds_read_b128 v[38:41], v32 offset:320
	v_mul_u32_u24_sdwa v52, v64, v37 dst_sel:DWORD dst_unused:UNUSED_PAD src0_sel:WORD_0 src1_sel:DWORD
	s_waitcnt lgkmcnt(1)
	v_pk_fma_f16 v61, v42, v46, v49
	v_pk_fma_f16 v63, v42, v48, v47
	v_pk_fma_f16 v12, v43, v46, v12
	v_pk_fma_f16 v8, v43, v48, v8
	ds_read2_b64 v[46:49], v62 offset1:32
	v_mul_u32_u24_sdwa v53, v64, v37 dst_sel:DWORD dst_unused:UNUSED_PAD src0_sel:WORD_1 src1_sel:DWORD
	v_pk_fma_f16 v10, v42, v52, v10
	v_pk_fma_f16 v11, v43, v52, v11
	v_mul_u32_u24_sdwa v52, v65, v37 dst_sel:DWORD dst_unused:UNUSED_PAD src0_sel:WORD_1 src1_sel:DWORD
	v_mul_u32_u24_sdwa v64, v66, v37 dst_sel:DWORD dst_unused:UNUSED_PAD src0_sel:WORD_0 src1_sel:DWORD
	v_pk_fma_f16 v42, v42, v53, v50
	v_mul_u32_u24_sdwa v50, v65, v37 dst_sel:DWORD dst_unused:UNUSED_PAD src0_sel:WORD_0 src1_sel:DWORD
	v_mul_u32_u24_sdwa v65, v66, v37 dst_sel:DWORD dst_unused:UNUSED_PAD src0_sel:WORD_1 src1_sel:DWORD
	v_pk_fma_f16 v43, v43, v53, v51
	v_pk_fma_f16 v63, v44, v52, v63
	;; [unrolled: 1-line block ×8, first 2 shown]
	ds_read_b128 v[50:53], v32 offset:336
	s_waitcnt lgkmcnt(2)
	v_mul_u32_u24_sdwa v44, v38, v37 dst_sel:DWORD dst_unused:UNUSED_PAD src0_sel:WORD_0 src1_sel:DWORD
	v_mul_u32_u24_sdwa v38, v38, v37 dst_sel:DWORD dst_unused:UNUSED_PAD src0_sel:WORD_1 src1_sel:DWORD
	v_mul_u32_u24_sdwa v64, v39, v37 dst_sel:DWORD dst_unused:UNUSED_PAD src0_sel:WORD_0 src1_sel:DWORD
	v_mul_u32_u24_sdwa v39, v39, v37 dst_sel:DWORD dst_unused:UNUSED_PAD src0_sel:WORD_1 src1_sel:DWORD
	v_pk_fma_f16 v65, v45, v65, v43
	s_waitcnt lgkmcnt(1)
	v_pk_fma_f16 v61, v46, v44, v61
	v_pk_fma_f16 v63, v46, v38, v63
	v_pk_fma_f16 v10, v46, v64, v10
	v_pk_fma_f16 v46, v46, v39, v42
	v_pk_fma_f16 v12, v47, v44, v12
	ds_read2_b64 v[42:45], v62 offset0:64 offset1:96
	v_pk_fma_f16 v8, v47, v38, v8
	v_pk_fma_f16 v11, v47, v64, v11
	v_mul_u32_u24_sdwa v38, v40, v37 dst_sel:DWORD dst_unused:UNUSED_PAD src0_sel:WORD_0 src1_sel:DWORD
	v_mul_u32_u24_sdwa v40, v40, v37 dst_sel:DWORD dst_unused:UNUSED_PAD src0_sel:WORD_1 src1_sel:DWORD
	v_mul_u32_u24_sdwa v64, v41, v37 dst_sel:DWORD dst_unused:UNUSED_PAD src0_sel:WORD_0 src1_sel:DWORD
	v_mul_u32_u24_sdwa v41, v41, v37 dst_sel:DWORD dst_unused:UNUSED_PAD src0_sel:WORD_1 src1_sel:DWORD
	v_pk_fma_f16 v39, v47, v39, v65
	v_pk_fma_f16 v47, v48, v38, v61
	;; [unrolled: 1-line block ×8, first 2 shown]
	s_waitcnt lgkmcnt(1)
	v_mul_u32_u24_sdwa v48, v50, v37 dst_sel:DWORD dst_unused:UNUSED_PAD src0_sel:WORD_0 src1_sel:DWORD
	v_mul_u32_u24_sdwa v50, v50, v37 dst_sel:DWORD dst_unused:UNUSED_PAD src0_sel:WORD_1 src1_sel:DWORD
	v_pk_fma_f16 v63, v49, v41, v39
	v_mul_u32_u24_sdwa v64, v51, v37 dst_sel:DWORD dst_unused:UNUSED_PAD src0_sel:WORD_0 src1_sel:DWORD
	v_mul_u32_u24_sdwa v51, v51, v37 dst_sel:DWORD dst_unused:UNUSED_PAD src0_sel:WORD_1 src1_sel:DWORD
	ds_read_b128 v[38:41], v32 offset:352
	s_waitcnt lgkmcnt(1)
	v_pk_fma_f16 v65, v42, v48, v47
	v_pk_fma_f16 v61, v42, v50, v61
	;; [unrolled: 1-line block ×5, first 2 shown]
	ds_read2_b64 v[46:49], v62 offset0:128 offset1:160
	v_pk_fma_f16 v8, v43, v50, v8
	v_pk_fma_f16 v11, v43, v64, v11
	v_mul_u32_u24_sdwa v50, v52, v37 dst_sel:DWORD dst_unused:UNUSED_PAD src0_sel:WORD_0 src1_sel:DWORD
	v_mul_u32_u24_sdwa v52, v52, v37 dst_sel:DWORD dst_unused:UNUSED_PAD src0_sel:WORD_1 src1_sel:DWORD
	v_mul_u32_u24_sdwa v64, v53, v37 dst_sel:DWORD dst_unused:UNUSED_PAD src0_sel:WORD_0 src1_sel:DWORD
	v_mul_u32_u24_sdwa v66, v53, v37 dst_sel:DWORD dst_unused:UNUSED_PAD src0_sel:WORD_1 src1_sel:DWORD
	v_pk_fma_f16 v43, v43, v51, v63
	v_pk_fma_f16 v63, v44, v50, v65
	;; [unrolled: 1-line block ×8, first 2 shown]
	ds_read_b128 v[50:53], v32 offset:368
	s_waitcnt lgkmcnt(2)
	v_mul_u32_u24_sdwa v44, v38, v37 dst_sel:DWORD dst_unused:UNUSED_PAD src0_sel:WORD_0 src1_sel:DWORD
	v_mul_u32_u24_sdwa v38, v38, v37 dst_sel:DWORD dst_unused:UNUSED_PAD src0_sel:WORD_1 src1_sel:DWORD
	v_mul_u32_u24_sdwa v64, v39, v37 dst_sel:DWORD dst_unused:UNUSED_PAD src0_sel:WORD_0 src1_sel:DWORD
	v_mul_u32_u24_sdwa v39, v39, v37 dst_sel:DWORD dst_unused:UNUSED_PAD src0_sel:WORD_1 src1_sel:DWORD
	v_pk_fma_f16 v65, v45, v66, v43
	s_waitcnt lgkmcnt(1)
	v_pk_fma_f16 v63, v46, v44, v63
	v_pk_fma_f16 v61, v46, v38, v61
	;; [unrolled: 1-line block ×5, first 2 shown]
	ds_read2_b64 v[42:45], v62 offset0:192 offset1:224
	v_pk_fma_f16 v8, v47, v38, v8
	v_pk_fma_f16 v11, v47, v64, v11
	v_mul_u32_u24_sdwa v38, v40, v37 dst_sel:DWORD dst_unused:UNUSED_PAD src0_sel:WORD_0 src1_sel:DWORD
	v_mul_u32_u24_sdwa v40, v40, v37 dst_sel:DWORD dst_unused:UNUSED_PAD src0_sel:WORD_1 src1_sel:DWORD
	v_mul_u32_u24_sdwa v62, v41, v37 dst_sel:DWORD dst_unused:UNUSED_PAD src0_sel:WORD_0 src1_sel:DWORD
	v_mul_u32_u24_sdwa v41, v41, v37 dst_sel:DWORD dst_unused:UNUSED_PAD src0_sel:WORD_1 src1_sel:DWORD
	v_pk_fma_f16 v39, v47, v39, v65
	v_pk_fma_f16 v47, v48, v38, v63
	;; [unrolled: 1-line block ×8, first 2 shown]
	s_waitcnt lgkmcnt(1)
	v_mul_u32_u24_sdwa v48, v50, v37 dst_sel:DWORD dst_unused:UNUSED_PAD src0_sel:WORD_0 src1_sel:DWORD
	v_mul_u32_u24_sdwa v50, v50, v37 dst_sel:DWORD dst_unused:UNUSED_PAD src0_sel:WORD_1 src1_sel:DWORD
	v_pk_fma_f16 v62, v49, v41, v39
	v_mul_u32_u24_sdwa v63, v51, v37 dst_sel:DWORD dst_unused:UNUSED_PAD src0_sel:WORD_0 src1_sel:DWORD
	v_mul_u32_u24_sdwa v51, v51, v37 dst_sel:DWORD dst_unused:UNUSED_PAD src0_sel:WORD_1 src1_sel:DWORD
	ds_read_b128 v[38:41], v32 offset:384
	s_waitcnt lgkmcnt(1)
	v_pk_fma_f16 v64, v42, v48, v47
	v_pk_fma_f16 v61, v42, v50, v61
	;; [unrolled: 1-line block ×5, first 2 shown]
	ds_read2_b64 v[46:49], v9 offset1:32
	v_pk_fma_f16 v8, v43, v50, v8
	v_pk_fma_f16 v11, v43, v63, v11
	v_mul_u32_u24_sdwa v50, v52, v37 dst_sel:DWORD dst_unused:UNUSED_PAD src0_sel:WORD_0 src1_sel:DWORD
	v_mul_u32_u24_sdwa v52, v52, v37 dst_sel:DWORD dst_unused:UNUSED_PAD src0_sel:WORD_1 src1_sel:DWORD
	v_mul_u32_u24_sdwa v63, v53, v37 dst_sel:DWORD dst_unused:UNUSED_PAD src0_sel:WORD_0 src1_sel:DWORD
	v_mul_u32_u24_sdwa v65, v53, v37 dst_sel:DWORD dst_unused:UNUSED_PAD src0_sel:WORD_1 src1_sel:DWORD
	v_pk_fma_f16 v43, v43, v51, v62
	v_pk_fma_f16 v62, v44, v50, v64
	;; [unrolled: 1-line block ×8, first 2 shown]
	ds_read_b128 v[50:53], v32 offset:400
	s_waitcnt lgkmcnt(2)
	v_mul_u32_u24_sdwa v44, v38, v37 dst_sel:DWORD dst_unused:UNUSED_PAD src0_sel:WORD_0 src1_sel:DWORD
	v_mul_u32_u24_sdwa v38, v38, v37 dst_sel:DWORD dst_unused:UNUSED_PAD src0_sel:WORD_1 src1_sel:DWORD
	v_mul_u32_u24_sdwa v63, v39, v37 dst_sel:DWORD dst_unused:UNUSED_PAD src0_sel:WORD_0 src1_sel:DWORD
	v_mul_u32_u24_sdwa v39, v39, v37 dst_sel:DWORD dst_unused:UNUSED_PAD src0_sel:WORD_1 src1_sel:DWORD
	v_pk_fma_f16 v64, v45, v65, v43
	s_waitcnt lgkmcnt(1)
	v_pk_fma_f16 v62, v46, v44, v62
	v_pk_fma_f16 v61, v46, v38, v61
	;; [unrolled: 1-line block ×5, first 2 shown]
	ds_read2_b64 v[42:45], v9 offset0:64 offset1:96
	v_pk_fma_f16 v8, v47, v38, v8
	v_pk_fma_f16 v11, v47, v63, v11
	v_mul_u32_u24_sdwa v38, v40, v37 dst_sel:DWORD dst_unused:UNUSED_PAD src0_sel:WORD_0 src1_sel:DWORD
	v_mul_u32_u24_sdwa v40, v40, v37 dst_sel:DWORD dst_unused:UNUSED_PAD src0_sel:WORD_1 src1_sel:DWORD
	v_mul_u32_u24_sdwa v63, v41, v37 dst_sel:DWORD dst_unused:UNUSED_PAD src0_sel:WORD_0 src1_sel:DWORD
	v_mul_u32_u24_sdwa v41, v41, v37 dst_sel:DWORD dst_unused:UNUSED_PAD src0_sel:WORD_1 src1_sel:DWORD
	v_pk_fma_f16 v39, v47, v39, v64
	v_pk_fma_f16 v47, v48, v38, v62
	;; [unrolled: 1-line block ×8, first 2 shown]
	s_waitcnt lgkmcnt(1)
	v_mul_u32_u24_sdwa v48, v50, v37 dst_sel:DWORD dst_unused:UNUSED_PAD src0_sel:WORD_0 src1_sel:DWORD
	v_mul_u32_u24_sdwa v50, v50, v37 dst_sel:DWORD dst_unused:UNUSED_PAD src0_sel:WORD_1 src1_sel:DWORD
	v_pk_fma_f16 v62, v49, v41, v39
	v_mul_u32_u24_sdwa v63, v51, v37 dst_sel:DWORD dst_unused:UNUSED_PAD src0_sel:WORD_0 src1_sel:DWORD
	v_mul_u32_u24_sdwa v51, v51, v37 dst_sel:DWORD dst_unused:UNUSED_PAD src0_sel:WORD_1 src1_sel:DWORD
	ds_read_b128 v[38:41], v32 offset:416
	s_waitcnt lgkmcnt(1)
	v_pk_fma_f16 v64, v42, v48, v47
	v_pk_fma_f16 v61, v42, v50, v61
	;; [unrolled: 1-line block ×5, first 2 shown]
	ds_read2_b64 v[46:49], v9 offset0:128 offset1:160
	v_pk_fma_f16 v8, v43, v50, v8
	v_pk_fma_f16 v11, v43, v63, v11
	v_mul_u32_u24_sdwa v50, v52, v37 dst_sel:DWORD dst_unused:UNUSED_PAD src0_sel:WORD_0 src1_sel:DWORD
	v_mul_u32_u24_sdwa v52, v52, v37 dst_sel:DWORD dst_unused:UNUSED_PAD src0_sel:WORD_1 src1_sel:DWORD
	v_mul_u32_u24_sdwa v63, v53, v37 dst_sel:DWORD dst_unused:UNUSED_PAD src0_sel:WORD_0 src1_sel:DWORD
	v_mul_u32_u24_sdwa v65, v53, v37 dst_sel:DWORD dst_unused:UNUSED_PAD src0_sel:WORD_1 src1_sel:DWORD
	v_pk_fma_f16 v43, v43, v51, v62
	v_pk_fma_f16 v62, v44, v50, v64
	;; [unrolled: 1-line block ×7, first 2 shown]
	ds_read_b128 v[50:53], v32 offset:432
	s_waitcnt lgkmcnt(2)
	v_mul_u32_u24_sdwa v8, v38, v37 dst_sel:DWORD dst_unused:UNUSED_PAD src0_sel:WORD_0 src1_sel:DWORD
	v_mul_u32_u24_sdwa v64, v39, v37 dst_sel:DWORD dst_unused:UNUSED_PAD src0_sel:WORD_0 src1_sel:DWORD
	v_pk_fma_f16 v63, v45, v63, v11
	v_pk_fma_f16 v43, v45, v65, v43
	v_mul_u32_u24_sdwa v38, v38, v37 dst_sel:DWORD dst_unused:UNUSED_PAD src0_sel:WORD_1 src1_sel:DWORD
	s_waitcnt lgkmcnt(1)
	v_pk_fma_f16 v45, v46, v8, v62
	v_pk_fma_f16 v62, v46, v64, v10
	;; [unrolled: 1-line block ×3, first 2 shown]
	ds_read2_b64 v[8:11], v9 offset0:192 offset1:224
	v_mul_u32_u24_sdwa v39, v39, v37 dst_sel:DWORD dst_unused:UNUSED_PAD src0_sel:WORD_1 src1_sel:DWORD
	v_pk_fma_f16 v61, v46, v38, v61
	v_pk_fma_f16 v38, v47, v38, v44
	;; [unrolled: 1-line block ×3, first 2 shown]
	v_mul_u32_u24_sdwa v63, v41, v37 dst_sel:DWORD dst_unused:UNUSED_PAD src0_sel:WORD_0 src1_sel:DWORD
	v_pk_fma_f16 v42, v46, v39, v42
	v_mul_u32_u24_sdwa v46, v40, v37 dst_sel:DWORD dst_unused:UNUSED_PAD src0_sel:WORD_0 src1_sel:DWORD
	v_mul_u32_u24_sdwa v40, v40, v37 dst_sel:DWORD dst_unused:UNUSED_PAD src0_sel:WORD_1 src1_sel:DWORD
	v_mul_u32_u24_sdwa v41, v41, v37 dst_sel:DWORD dst_unused:UNUSED_PAD src0_sel:WORD_1 src1_sel:DWORD
	v_pk_fma_f16 v39, v47, v39, v43
	v_pk_fma_f16 v47, v48, v63, v62
	;; [unrolled: 1-line block ×8, first 2 shown]
	s_waitcnt lgkmcnt(1)
	v_mul_u32_u24_sdwa v44, v50, v37 dst_sel:DWORD dst_unused:UNUSED_PAD src0_sel:WORD_0 src1_sel:DWORD
	v_mul_u32_u24_sdwa v50, v50, v37 dst_sel:DWORD dst_unused:UNUSED_PAD src0_sel:WORD_1 src1_sel:DWORD
	v_pk_fma_f16 v49, v49, v41, v39
	v_mul_u32_u24_sdwa v61, v51, v37 dst_sel:DWORD dst_unused:UNUSED_PAD src0_sel:WORD_0 src1_sel:DWORD
	v_mul_u32_u24_sdwa v51, v51, v37 dst_sel:DWORD dst_unused:UNUSED_PAD src0_sel:WORD_1 src1_sel:DWORD
	ds_read_b128 v[38:41], v32 offset:448
	s_waitcnt lgkmcnt(1)
	v_pk_fma_f16 v62, v8, v44, v43
	v_pk_fma_f16 v63, v8, v50, v45
	;; [unrolled: 1-line block ×5, first 2 shown]
	ds_read2_b64 v[42:45], v5 offset1:32
	v_pk_fma_f16 v46, v9, v50, v46
	v_pk_fma_f16 v48, v9, v61, v48
	v_mul_u32_u24_sdwa v50, v52, v37 dst_sel:DWORD dst_unused:UNUSED_PAD src0_sel:WORD_0 src1_sel:DWORD
	v_mul_u32_u24_sdwa v52, v52, v37 dst_sel:DWORD dst_unused:UNUSED_PAD src0_sel:WORD_1 src1_sel:DWORD
	v_mul_u32_u24_sdwa v61, v53, v37 dst_sel:DWORD dst_unused:UNUSED_PAD src0_sel:WORD_0 src1_sel:DWORD
	v_mul_u32_u24_sdwa v53, v53, v37 dst_sel:DWORD dst_unused:UNUSED_PAD src0_sel:WORD_1 src1_sel:DWORD
	v_pk_fma_f16 v9, v9, v51, v49
	v_pk_fma_f16 v51, v10, v50, v62
	;; [unrolled: 1-line block ×8, first 2 shown]
	ds_read_b128 v[46:49], v32 offset:464
	s_waitcnt lgkmcnt(2)
	v_mul_u32_u24_sdwa v52, v38, v37 dst_sel:DWORD dst_unused:UNUSED_PAD src0_sel:WORD_0 src1_sel:DWORD
	v_mul_u32_u24_sdwa v38, v38, v37 dst_sel:DWORD dst_unused:UNUSED_PAD src0_sel:WORD_1 src1_sel:DWORD
	v_mul_u32_u24_sdwa v61, v39, v37 dst_sel:DWORD dst_unused:UNUSED_PAD src0_sel:WORD_0 src1_sel:DWORD
	v_mul_u32_u24_sdwa v39, v39, v37 dst_sel:DWORD dst_unused:UNUSED_PAD src0_sel:WORD_1 src1_sel:DWORD
	v_pk_fma_f16 v53, v11, v53, v9
	s_waitcnt lgkmcnt(1)
	v_pk_fma_f16 v51, v42, v52, v51
	v_pk_fma_f16 v62, v42, v38, v62
	;; [unrolled: 1-line block ×5, first 2 shown]
	ds_read2_b64 v[8:11], v5 offset0:64 offset1:96
	v_pk_fma_f16 v12, v43, v38, v12
	v_pk_fma_f16 v38, v43, v61, v50
	v_mul_u32_u24_sdwa v50, v40, v37 dst_sel:DWORD dst_unused:UNUSED_PAD src0_sel:WORD_0 src1_sel:DWORD
	v_mul_u32_u24_sdwa v40, v40, v37 dst_sel:DWORD dst_unused:UNUSED_PAD src0_sel:WORD_1 src1_sel:DWORD
	v_mul_u32_u24_sdwa v61, v41, v37 dst_sel:DWORD dst_unused:UNUSED_PAD src0_sel:WORD_0 src1_sel:DWORD
	v_mul_u32_u24_sdwa v41, v41, v37 dst_sel:DWORD dst_unused:UNUSED_PAD src0_sel:WORD_1 src1_sel:DWORD
	v_pk_fma_f16 v39, v43, v39, v53
	v_pk_fma_f16 v43, v44, v50, v51
	;; [unrolled: 1-line block ×8, first 2 shown]
	s_waitcnt lgkmcnt(1)
	v_mul_u32_u24_sdwa v52, v46, v37 dst_sel:DWORD dst_unused:UNUSED_PAD src0_sel:WORD_0 src1_sel:DWORD
	v_mul_u32_u24_sdwa v46, v46, v37 dst_sel:DWORD dst_unused:UNUSED_PAD src0_sel:WORD_1 src1_sel:DWORD
	v_pk_fma_f16 v61, v45, v41, v39
	v_mul_u32_u24_sdwa v62, v47, v37 dst_sel:DWORD dst_unused:UNUSED_PAD src0_sel:WORD_0 src1_sel:DWORD
	v_mul_u32_u24_sdwa v47, v47, v37 dst_sel:DWORD dst_unused:UNUSED_PAD src0_sel:WORD_1 src1_sel:DWORD
	ds_read_b128 v[38:41], v32 offset:480
	s_waitcnt lgkmcnt(1)
	v_pk_fma_f16 v63, v8, v52, v43
	v_pk_fma_f16 v51, v8, v46, v51
	;; [unrolled: 1-line block ×5, first 2 shown]
	ds_read2_b64 v[42:45], v5 offset0:128 offset1:160
	v_pk_fma_f16 v12, v9, v46, v12
	v_pk_fma_f16 v46, v9, v62, v50
	v_mul_u32_u24_sdwa v50, v48, v37 dst_sel:DWORD dst_unused:UNUSED_PAD src0_sel:WORD_0 src1_sel:DWORD
	v_mul_u32_u24_sdwa v48, v48, v37 dst_sel:DWORD dst_unused:UNUSED_PAD src0_sel:WORD_1 src1_sel:DWORD
	v_mul_u32_u24_sdwa v62, v49, v37 dst_sel:DWORD dst_unused:UNUSED_PAD src0_sel:WORD_0 src1_sel:DWORD
	v_mul_u32_u24_sdwa v64, v49, v37 dst_sel:DWORD dst_unused:UNUSED_PAD src0_sel:WORD_1 src1_sel:DWORD
	v_pk_fma_f16 v9, v9, v47, v61
	v_pk_fma_f16 v61, v10, v50, v63
	;; [unrolled: 1-line block ×8, first 2 shown]
	ds_read_b128 v[46:49], v32 offset:496
	s_waitcnt lgkmcnt(2)
	v_mul_u32_u24_sdwa v52, v38, v37 dst_sel:DWORD dst_unused:UNUSED_PAD src0_sel:WORD_0 src1_sel:DWORD
	v_mul_u32_u24_sdwa v38, v38, v37 dst_sel:DWORD dst_unused:UNUSED_PAD src0_sel:WORD_1 src1_sel:DWORD
	v_mul_u32_u24_sdwa v62, v39, v37 dst_sel:DWORD dst_unused:UNUSED_PAD src0_sel:WORD_0 src1_sel:DWORD
	v_mul_u32_u24_sdwa v39, v39, v37 dst_sel:DWORD dst_unused:UNUSED_PAD src0_sel:WORD_1 src1_sel:DWORD
	v_pk_fma_f16 v63, v11, v64, v9
	s_waitcnt lgkmcnt(1)
	v_pk_fma_f16 v61, v42, v52, v61
	v_pk_fma_f16 v51, v42, v38, v51
	;; [unrolled: 1-line block ×5, first 2 shown]
	ds_read2_b64 v[8:11], v5 offset0:192 offset1:224
	s_waitcnt lgkmcnt(0)
	s_barrier
	buffer_gl0_inv
	s_load_dword s18, s[0:1], 0x4
	v_pk_fma_f16 v12, v43, v38, v12
	v_pk_fma_f16 v38, v43, v62, v50
	v_mul_u32_u24_sdwa v50, v40, v37 dst_sel:DWORD dst_unused:UNUSED_PAD src0_sel:WORD_0 src1_sel:DWORD
	v_mul_u32_u24_sdwa v40, v40, v37 dst_sel:DWORD dst_unused:UNUSED_PAD src0_sel:WORD_1 src1_sel:DWORD
	v_mul_u32_u24_sdwa v5, v41, v37 dst_sel:DWORD dst_unused:UNUSED_PAD src0_sel:WORD_0 src1_sel:DWORD
	v_mul_u32_u24_sdwa v41, v41, v37 dst_sel:DWORD dst_unused:UNUSED_PAD src0_sel:WORD_1 src1_sel:DWORD
	v_pk_fma_f16 v39, v43, v39, v63
	v_pk_fma_f16 v43, v44, v50, v61
	;; [unrolled: 1-line block ×9, first 2 shown]
	v_mul_u32_u24_sdwa v39, v46, v37 dst_sel:DWORD dst_unused:UNUSED_PAD src0_sel:WORD_0 src1_sel:DWORD
	v_mul_u32_u24_sdwa v40, v46, v37 dst_sel:DWORD dst_unused:UNUSED_PAD src0_sel:WORD_1 src1_sel:DWORD
	v_mul_u32_u24_sdwa v41, v47, v37 dst_sel:DWORD dst_unused:UNUSED_PAD src0_sel:WORD_0 src1_sel:DWORD
	v_mul_u32_u24_sdwa v45, v47, v37 dst_sel:DWORD dst_unused:UNUSED_PAD src0_sel:WORD_1 src1_sel:DWORD
	v_mul_u32_u24_sdwa v50, v48, v37 dst_sel:DWORD dst_unused:UNUSED_PAD src0_sel:WORD_1 src1_sel:DWORD
	v_pk_fma_f16 v43, v8, v39, v43
	v_pk_fma_f16 v46, v8, v40, v51
	;; [unrolled: 1-line block ×7, first 2 shown]
	v_mul_u32_u24_sdwa v41, v48, v37 dst_sel:DWORD dst_unused:UNUSED_PAD src0_sel:WORD_0 src1_sel:DWORD
	v_mul_u32_u24_sdwa v51, v49, v37 dst_sel:DWORD dst_unused:UNUSED_PAD src0_sel:WORD_0 src1_sel:DWORD
	v_mul_u32_u24_sdwa v49, v49, v37 dst_sel:DWORD dst_unused:UNUSED_PAD src0_sel:WORD_1 src1_sel:DWORD
	v_pk_fma_f16 v9, v9, v45, v38
	s_waitcnt lgkmcnt(0)
	s_lshl_b32 s18, s18, 6
	v_pk_fma_f16 v40, v10, v41, v43
	v_pk_fma_f16 v39, v10, v50, v46
	;; [unrolled: 1-line block ×8, first 2 shown]
	s_add_i32 s6, s18, s6
	s_cmp_ge_i32 s6, s30
	s_cbranch_scc1 .LBB19_51
; %bb.50:                               ;   in Loop: Header=BB19_17 Depth=1
	v_mov_b32_e32 v51, v1
	v_mov_b32_e32 v53, v2
	;; [unrolled: 1-line block ×8, first 2 shown]
	s_branch .LBB19_17
.LBB19_51:
	v_mov_b32_e32 v8, v27
.LBB19_52:
	v_cmp_lt_i32_e32 vcc_lo, v60, v28
	s_cmp_lg_u64 s[16:17], 0
	s_cselect_b32 s0, -1, 0
	s_cmp_eq_u32 s28, 0
	v_cndmask_b32_e32 v5, v8, v60, vcc_lo
	v_cmp_lt_i32_e32 vcc_lo, v59, v28
	s_cselect_b32 s1, -1, 0
	s_and_b32 s0, s1, s0
	v_lshlrev_b32_e32 v5, 2, v5
	v_cndmask_b32_e32 v12, v8, v59, vcc_lo
	v_cmp_lt_i32_e32 vcc_lo, v58, v28
	ds_bpermute_b32 v9, v5, v54
	ds_bpermute_b32 v10, v5, v55
	;; [unrolled: 1-line block ×4, first 2 shown]
	v_lshlrev_b32_e32 v12, 2, v12
	v_cndmask_b32_e32 v15, v8, v58, vcc_lo
	v_cmp_lt_i32_e32 vcc_lo, v57, v28
	v_lshlrev_b32_e32 v15, 2, v15
	s_waitcnt lgkmcnt(3)
	v_add_f32_e32 v9, v54, v9
	s_waitcnt lgkmcnt(2)
	v_add_f32_e32 v10, v55, v10
	;; [unrolled: 2-line block ×4, first 2 shown]
	ds_bpermute_b32 v6, v12, v9
	ds_bpermute_b32 v11, v12, v10
	;; [unrolled: 1-line block ×4, first 2 shown]
	s_waitcnt lgkmcnt(3)
	v_add_f32_e32 v6, v9, v6
	s_waitcnt lgkmcnt(2)
	v_add_f32_e32 v9, v10, v11
	;; [unrolled: 2-line block ×4, first 2 shown]
	ds_bpermute_b32 v10, v15, v6
	ds_bpermute_b32 v11, v15, v9
	;; [unrolled: 1-line block ×4, first 2 shown]
	v_cndmask_b32_e32 v15, v8, v57, vcc_lo
	v_cmp_lt_i32_e32 vcc_lo, v56, v28
	v_lshlrev_b32_e32 v15, 2, v15
	v_cndmask_b32_e32 v8, v8, v56, vcc_lo
	s_and_b32 vcc_lo, exec_lo, s0
	v_lshlrev_b32_e32 v8, 2, v8
	s_waitcnt lgkmcnt(3)
	v_add_f32_e32 v6, v6, v10
	s_waitcnt lgkmcnt(2)
	v_add_f32_e32 v9, v9, v11
	;; [unrolled: 2-line block ×4, first 2 shown]
	ds_bpermute_b32 v10, v15, v6
	ds_bpermute_b32 v11, v15, v9
	;; [unrolled: 1-line block ×4, first 2 shown]
	s_waitcnt lgkmcnt(3)
	v_add_f32_e32 v6, v6, v10
	s_waitcnt lgkmcnt(2)
	v_add_f32_e32 v9, v9, v11
	;; [unrolled: 2-line block ×4, first 2 shown]
	ds_bpermute_b32 v5, v8, v6
	ds_bpermute_b32 v11, v8, v9
	;; [unrolled: 1-line block ×4, first 2 shown]
	s_waitcnt lgkmcnt(3)
	v_add_f32_e32 v5, v6, v5
	s_waitcnt lgkmcnt(2)
	v_add_f32_e32 v6, v9, v11
	;; [unrolled: 2-line block ×4, first 2 shown]
	s_cbranch_vccz .LBB19_55
; %bb.53:
	v_add_nc_u32_e32 v9, s29, v23
	v_max_f32_e32 v14, v1, v1
	v_max_f32_e32 v15, v2, v2
	v_max_f32_e32 v16, v3, v3
	v_max_f32_e32 v18, v4, v4
	v_ashrrev_i32_e32 v10, 31, v9
	v_mov_b32_e32 v22, 0x10001
	v_lshlrev_b64 v[9:10], 2, v[9:10]
	v_add_co_u32 v9, vcc_lo, s16, v9
	v_add_co_ci_u32_e64 v10, null, s17, v10, vcc_lo
	global_load_dwordx4 v[9:12], v[9:10], off
	s_waitcnt vmcnt(0)
	v_max_f32_e32 v17, v9, v9
	v_max_f32_e32 v19, v10, v10
	;; [unrolled: 1-line block ×8, first 2 shown]
	v_sub_f32_e32 v18, v1, v14
	v_sub_f32_e32 v19, v2, v15
	;; [unrolled: 1-line block ×4, first 2 shown]
	v_mov_b32_e32 v1, v14
	v_sub_f32_e32 v9, v9, v14
	v_mov_b32_e32 v2, v15
	v_mov_b32_e32 v3, v16
	v_mov_b32_e32 v4, v17
	v_mul_f32_e32 v14, 0x3fb8aa3b, v18
	v_sub_f32_e32 v10, v10, v15
	v_mul_f32_e32 v15, 0x3fb8aa3b, v9
	v_sub_f32_e32 v11, v11, v16
	v_mul_f32_e32 v16, 0x3fb8aa3b, v19
	v_fma_f32 v29, 0x3fb8aa3b, v18, -v14
	v_rndne_f32_e32 v30, v14
	v_fma_f32 v31, 0x3fb8aa3b, v9, -v15
	v_rndne_f32_e32 v32, v15
	v_sub_f32_e32 v12, v12, v17
	v_fmac_f32_e32 v29, 0x32a5705f, v18
	v_sub_f32_e32 v14, v14, v30
	v_mul_f32_e32 v17, 0x3fb8aa3b, v10
	v_fma_f32 v33, 0x3fb8aa3b, v19, -v16
	v_rndne_f32_e32 v34, v16
	v_fmac_f32_e32 v31, 0x32a5705f, v9
	v_sub_f32_e32 v15, v15, v32
	v_add_f32_e32 v14, v14, v29
	v_mul_f32_e32 v25, 0x3fb8aa3b, v20
	v_fma_f32 v35, 0x3fb8aa3b, v10, -v17
	v_rndne_f32_e32 v36, v17
	v_fmac_f32_e32 v33, 0x32a5705f, v19
	v_sub_f32_e32 v16, v16, v34
	v_add_f32_e32 v15, v15, v31
	v_exp_f32_e32 v14, v14
	v_mul_f32_e32 v26, 0x3fb8aa3b, v11
	v_fma_f32 v37, 0x3fb8aa3b, v20, -v25
	v_rndne_f32_e32 v43, v25
	v_cvt_i32_f32_e32 v30, v30
	v_fmac_f32_e32 v35, 0x32a5705f, v10
	v_sub_f32_e32 v17, v17, v36
	v_add_f32_e32 v16, v16, v33
	v_exp_f32_e32 v15, v15
	v_mul_f32_e32 v27, 0x3fb8aa3b, v21
	v_fma_f32 v44, 0x3fb8aa3b, v11, -v26
	v_rndne_f32_e32 v46, v26
	v_cvt_i32_f32_e32 v32, v32
	v_fmac_f32_e32 v37, 0x32a5705f, v20
	v_sub_f32_e32 v25, v25, v43
	v_add_f32_e32 v17, v17, v35
	v_exp_f32_e32 v16, v16
	v_ldexp_f32 v14, v14, v30
	v_cmp_ngt_f32_e32 vcc_lo, 0xc2ce8ed0, v18
	v_mul_f32_e32 v28, 0x3fb8aa3b, v12
	v_fma_f32 v49, 0x3fb8aa3b, v21, -v27
	v_rndne_f32_e32 v50, v27
	v_cvt_i32_f32_e32 v34, v34
	v_fmac_f32_e32 v44, 0x32a5705f, v11
	v_sub_f32_e32 v26, v26, v46
	v_add_f32_e32 v25, v25, v37
	v_exp_f32_e32 v17, v17
	v_ldexp_f32 v15, v15, v32
	v_cndmask_b32_e32 v14, 0, v14, vcc_lo
	v_cmp_ngt_f32_e32 vcc_lo, 0xc2ce8ed0, v9
	v_fma_f32 v51, 0x3fb8aa3b, v12, -v28
	v_rndne_f32_e32 v52, v28
	v_cvt_i32_f32_e32 v36, v36
	v_fmac_f32_e32 v49, 0x32a5705f, v21
	v_sub_f32_e32 v27, v27, v50
	v_add_f32_e32 v26, v26, v44
	v_exp_f32_e32 v25, v25
	v_ldexp_f32 v16, v16, v34
	v_cndmask_b32_e32 v15, 0, v15, vcc_lo
	v_cmp_ngt_f32_e32 vcc_lo, 0xc2ce8ed0, v19
	v_cvt_i32_f32_e32 v43, v43
	v_fmac_f32_e32 v51, 0x32a5705f, v12
	v_sub_f32_e32 v28, v28, v52
	v_add_f32_e32 v27, v27, v49
	v_exp_f32_e32 v26, v26
	v_ldexp_f32 v17, v17, v36
	v_cndmask_b32_e32 v16, 0, v16, vcc_lo
	v_cmp_ngt_f32_e32 vcc_lo, 0xc2ce8ed0, v10
	v_cvt_i32_f32_e32 v46, v46
	v_add_f32_e32 v28, v28, v51
	v_exp_f32_e32 v27, v27
	v_ldexp_f32 v25, v25, v43
	v_cndmask_b32_e32 v17, 0, v17, vcc_lo
	v_cmp_ngt_f32_e32 vcc_lo, 0xc2ce8ed0, v20
	v_exp_f32_e32 v28, v28
	v_cvt_i32_f32_e32 v29, v50
	v_ldexp_f32 v26, v26, v46
	v_cvt_i32_f32_e32 v31, v52
	v_cndmask_b32_e32 v25, 0, v25, vcc_lo
	v_cmp_ngt_f32_e32 vcc_lo, 0xc2ce8ed0, v11
	v_ldexp_f32 v27, v27, v29
	v_cndmask_b32_e32 v26, 0, v26, vcc_lo
	v_cmp_ngt_f32_e32 vcc_lo, 0xc2ce8ed0, v21
	v_ldexp_f32 v28, v28, v31
	v_cndmask_b32_e32 v27, 0, v27, vcc_lo
	v_cmp_ngt_f32_e32 vcc_lo, 0xc2ce8ed0, v12
	v_cndmask_b32_e32 v28, 0, v28, vcc_lo
	v_cmp_nlt_f32_e32 vcc_lo, 0x42b17218, v18
	v_cndmask_b32_e32 v14, 0x7f800000, v14, vcc_lo
	v_cmp_nlt_f32_e32 vcc_lo, 0x42b17218, v9
	;; [unrolled: 2-line block ×3, first 2 shown]
	v_fmac_f32_e32 v9, v5, v14
	v_cndmask_b32_e32 v15, 0x7f800000, v16, vcc_lo
	v_cmp_nlt_f32_e32 vcc_lo, 0x42b17218, v10
	v_cvt_f16_f32_e32 v5, v14
	v_cndmask_b32_e32 v10, 0x7f800000, v17, vcc_lo
	v_cmp_nlt_f32_e32 vcc_lo, 0x42b17218, v20
	v_fmac_f32_e32 v10, v6, v15
	v_cndmask_b32_e32 v16, 0x7f800000, v25, vcc_lo
	v_cmp_nlt_f32_e32 vcc_lo, 0x42b17218, v11
	v_cvt_f16_f32_e32 v6, v15
	v_cndmask_b32_e32 v11, 0x7f800000, v26, vcc_lo
	v_cmp_nlt_f32_e32 vcc_lo, 0x42b17218, v21
	v_mul_u32_u24_sdwa v15, v6, v22 dst_sel:DWORD dst_unused:UNUSED_PAD src0_sel:WORD_0 src1_sel:DWORD
	v_mov_b32_e32 v6, v10
	v_fmac_f32_e32 v11, v7, v16
	v_cndmask_b32_e32 v17, 0x7f800000, v27, vcc_lo
	v_cmp_nlt_f32_e32 vcc_lo, 0x42b17218, v12
	v_cvt_f16_f32_e32 v7, v16
	v_pk_mul_f16 v39, v39, v15
	v_pk_mul_f16 v47, v47, v15
	v_cvt_f16_f32_e32 v14, v17
	v_cndmask_b32_e32 v12, 0x7f800000, v28, vcc_lo
	v_mul_u32_u24_sdwa v16, v7, v22 dst_sel:DWORD dst_unused:UNUSED_PAD src0_sel:WORD_0 src1_sel:DWORD
	v_mov_b32_e32 v7, v11
	v_mul_u32_u24_sdwa v14, v14, v22 dst_sel:DWORD dst_unused:UNUSED_PAD src0_sel:WORD_0 src1_sel:DWORD
	v_fmac_f32_e32 v12, v8, v17
	v_mul_u32_u24_sdwa v8, v5, v22 dst_sel:DWORD dst_unused:UNUSED_PAD src0_sel:WORD_0 src1_sel:DWORD
	v_mov_b32_e32 v5, v9
	v_pk_mul_f16 v38, v38, v16
	v_pk_mul_f16 v45, v45, v16
	;; [unrolled: 1-line block ×6, first 2 shown]
	v_mov_b32_e32 v8, v12
	s_mov_b32 s0, exec_lo
	v_cmpx_gt_i32_e64 s2, v13
	s_cbranch_execnz .LBB19_56
.LBB19_54:
	s_endpgm
.LBB19_55:
	v_mov_b32_e32 v12, v8
	v_mov_b32_e32 v11, v7
	;; [unrolled: 1-line block ×4, first 2 shown]
	s_mov_b32 s0, exec_lo
	v_cmpx_gt_i32_e64 s2, v13
	s_cbranch_execz .LBB19_54
.LBB19_56:
	s_load_dword s1, s[4:5], 0xd4
	v_mov_b32_e32 v15, 1.0
	s_waitcnt lgkmcnt(0)
	s_cmp_lg_u32 s1, 1
	s_cselect_b32 s5, -1, 0
	s_cmp_eq_u32 s1, 1
	s_cselect_b32 s4, -1, 0
	s_and_b32 vcc_lo, exec_lo, s5
	s_cbranch_vccnz .LBB19_58
; %bb.57:
	v_div_scale_f32 v14, null, v5, v5, 1.0
	v_rcp_f32_e32 v15, v14
	v_fma_f32 v16, -v14, v15, 1.0
	v_fmac_f32_e32 v15, v16, v15
	v_div_scale_f32 v16, vcc_lo, 1.0, v5, 1.0
	v_mul_f32_e32 v17, v16, v15
	v_fma_f32 v18, -v14, v17, v16
	v_fmac_f32_e32 v17, v18, v15
	v_fma_f32 v14, -v14, v17, v16
	v_div_fmas_f32 v14, v14, v15, v17
	v_div_fixup_f32 v15, v14, v5, 1.0
.LBB19_58:
	v_mad_u64_u32 v[13:14], null, s7, s2, v[13:14]
	v_mov_b32_e32 v17, 0
	v_cmp_eq_u32_e32 vcc_lo, 0, v0
	v_cvt_f32_f16_e32 v0, v40
	v_cvt_f32_f16_sdwa v19, v48 dst_sel:DWORD dst_unused:UNUSED_PAD src0_sel:WORD_1
	v_mul_lo_u32 v5, v13, s3
	v_mul_f32_e32 v19, v15, v19
	v_add3_u32 v5, s29, v23, v5
	v_mad_u64_u32 v[13:14], null, s1, v5, s[28:29]
	v_cvt_f32_f16_e32 v14, v48
	v_cvt_f32_f16_sdwa v5, v40 dst_sel:DWORD dst_unused:UNUSED_PAD src0_sel:WORD_1
	v_mul_f32_e32 v18, v15, v14
	v_lshl_add_u32 v16, v13, 7, v24
	v_lshlrev_b64 v[20:21], 2, v[16:17]
	v_mul_f32_e32 v16, v15, v0
	v_mul_f32_e32 v17, v15, v5
	v_add_co_u32 v14, s0, s20, v20
	v_add_co_ci_u32_e64 v15, null, s21, v21, s0
	s_and_b32 s0, vcc_lo, s5
	global_store_dwordx4 v[14:15], v[16:19], off
	s_and_saveexec_b32 s2, s0
	s_cbranch_execz .LBB19_60
; %bb.59:
	v_ashrrev_i32_e32 v14, 31, v13
	v_mov_b32_e32 v0, v1
	v_mov_b32_e32 v1, v9
	v_lshlrev_b64 v[14:15], 3, v[13:14]
	v_add_co_u32 v14, vcc_lo, s22, v14
	v_add_co_ci_u32_e64 v15, null, s23, v15, vcc_lo
	global_store_dwordx2 v[14:15], v[0:1], off
.LBB19_60:
	s_or_b32 exec_lo, exec_lo, s2
	v_cndmask_b32_e64 v5, 0, 1, s4
	v_mov_b32_e32 v1, 1.0
	s_andn2_b32 vcc_lo, exec_lo, s4
	s_cbranch_vccnz .LBB19_62
; %bb.61:
	v_div_scale_f32 v0, null, v6, v6, 1.0
	v_rcp_f32_e32 v1, v0
	v_fma_f32 v9, -v0, v1, 1.0
	v_fmac_f32_e32 v1, v9, v1
	v_div_scale_f32 v9, vcc_lo, 1.0, v6, 1.0
	v_mul_f32_e32 v14, v9, v1
	v_fma_f32 v15, -v0, v14, v9
	v_fmac_f32_e32 v14, v15, v1
	v_fma_f32 v0, -v0, v14, v9
	v_div_fmas_f32 v0, v0, v1, v14
	v_div_fixup_f32 v1, v0, v6, 1.0
.LBB19_62:
	v_add_nc_u32_e32 v0, s1, v13
	v_mov_b32_e32 v14, 0
	v_cvt_f32_f16_e32 v6, v39
	v_cvt_f32_f16_sdwa v9, v39 dst_sel:DWORD dst_unused:UNUSED_PAD src0_sel:WORD_1
	v_cvt_f32_f16_e32 v15, v47
	v_lshl_add_u32 v13, v0, 7, v24
	v_cvt_f32_f16_sdwa v16, v47 dst_sel:DWORD dst_unused:UNUSED_PAD src0_sel:WORD_1
	v_mul_f32_e32 v15, v1, v15
	v_lshlrev_b64 v[17:18], 2, v[13:14]
	v_mul_f32_e32 v13, v1, v6
	v_mul_f32_e32 v14, v1, v9
	;; [unrolled: 1-line block ×3, first 2 shown]
	v_add_co_u32 v17, vcc_lo, s20, v17
	v_add_co_ci_u32_e64 v18, null, s21, v18, vcc_lo
	global_store_dwordx4 v[17:18], v[13:16], off
	s_and_saveexec_b32 s2, s0
	s_cbranch_execz .LBB19_64
; %bb.63:
	v_ashrrev_i32_e32 v1, 31, v0
	v_mov_b32_e32 v9, v2
	v_lshlrev_b64 v[13:14], 3, v[0:1]
	v_add_co_u32 v13, vcc_lo, s22, v13
	v_add_co_ci_u32_e64 v14, null, s23, v14, vcc_lo
	global_store_dwordx2 v[13:14], v[9:10], off
.LBB19_64:
	s_or_b32 exec_lo, exec_lo, s2
	v_cmp_ne_u32_e32 vcc_lo, 1, v5
	v_mov_b32_e32 v1, 1.0
	s_cbranch_vccnz .LBB19_66
; %bb.65:
	v_div_scale_f32 v1, null, v7, v7, 1.0
	v_rcp_f32_e32 v2, v1
	v_fma_f32 v6, -v1, v2, 1.0
	v_fmac_f32_e32 v2, v6, v2
	v_div_scale_f32 v6, vcc_lo, 1.0, v7, 1.0
	v_mul_f32_e32 v9, v6, v2
	v_fma_f32 v10, -v1, v9, v6
	v_fmac_f32_e32 v9, v10, v2
	v_fma_f32 v1, -v1, v9, v6
	v_div_fmas_f32 v1, v1, v2, v9
	v_div_fixup_f32 v1, v1, v7, 1.0
.LBB19_66:
	v_add_nc_u32_e32 v0, s1, v0
	v_mov_b32_e32 v7, 0
	v_cvt_f32_f16_e32 v2, v38
	v_cvt_f32_f16_sdwa v9, v38 dst_sel:DWORD dst_unused:UNUSED_PAD src0_sel:WORD_1
	v_cvt_f32_f16_e32 v10, v45
	v_lshl_add_u32 v6, v0, 7, v24
	v_cvt_f32_f16_sdwa v16, v45 dst_sel:DWORD dst_unused:UNUSED_PAD src0_sel:WORD_1
	v_mul_f32_e32 v13, v1, v2
	v_mul_f32_e32 v14, v1, v9
	;; [unrolled: 1-line block ×3, first 2 shown]
	v_lshlrev_b64 v[6:7], 2, v[6:7]
	v_mul_f32_e32 v16, v1, v16
	v_add_co_u32 v1, vcc_lo, s20, v6
	v_add_co_ci_u32_e64 v2, null, s21, v7, vcc_lo
	global_store_dwordx4 v[1:2], v[13:16], off
	s_and_saveexec_b32 s2, s0
	s_cbranch_execz .LBB19_68
; %bb.67:
	v_ashrrev_i32_e32 v1, 31, v0
	v_mov_b32_e32 v10, v3
	v_lshlrev_b64 v[1:2], 3, v[0:1]
	v_add_co_u32 v1, vcc_lo, s22, v1
	v_add_co_ci_u32_e64 v2, null, s23, v2, vcc_lo
	global_store_dwordx2 v[1:2], v[10:11], off
.LBB19_68:
	s_or_b32 exec_lo, exec_lo, s2
	v_cmp_ne_u32_e32 vcc_lo, 1, v5
	v_mov_b32_e32 v1, 1.0
	s_cbranch_vccnz .LBB19_70
; %bb.69:
	v_div_scale_f32 v1, null, v8, v8, 1.0
	v_rcp_f32_e32 v2, v1
	v_fma_f32 v3, -v1, v2, 1.0
	v_fmac_f32_e32 v2, v3, v2
	v_div_scale_f32 v3, vcc_lo, 1.0, v8, 1.0
	v_mul_f32_e32 v5, v3, v2
	v_fma_f32 v6, -v1, v5, v3
	v_fmac_f32_e32 v5, v6, v2
	v_fma_f32 v1, -v1, v5, v3
	v_div_fmas_f32 v1, v1, v2, v5
	v_div_fixup_f32 v1, v1, v8, 1.0
.LBB19_70:
	v_add_nc_u32_e32 v0, s1, v0
	v_mov_b32_e32 v3, 0
	v_cvt_f32_f16_e32 v5, v42
	v_cvt_f32_f16_sdwa v6, v42 dst_sel:DWORD dst_unused:UNUSED_PAD src0_sel:WORD_1
	v_cvt_f32_f16_e32 v7, v41
	v_lshl_add_u32 v2, v0, 7, v24
	v_cvt_f32_f16_sdwa v8, v41 dst_sel:DWORD dst_unused:UNUSED_PAD src0_sel:WORD_1
	v_mul_f32_e32 v5, v1, v5
	v_mul_f32_e32 v6, v1, v6
	v_mul_f32_e32 v7, v1, v7
	v_lshlrev_b64 v[2:3], 2, v[2:3]
	v_mul_f32_e32 v8, v1, v8
	v_add_co_u32 v1, vcc_lo, s20, v2
	v_add_co_ci_u32_e64 v2, null, s21, v3, vcc_lo
	global_store_dwordx4 v[1:2], v[5:8], off
	s_and_b32 exec_lo, exec_lo, s0
	s_cbranch_execz .LBB19_54
; %bb.71:
	v_ashrrev_i32_e32 v1, 31, v0
	v_mov_b32_e32 v11, v4
	v_lshlrev_b64 v[0:1], 3, v[0:1]
	v_add_co_u32 v0, vcc_lo, s22, v0
	v_add_co_ci_u32_e64 v1, null, s23, v1, vcc_lo
	global_store_dwordx2 v[0:1], v[11:12], off
	s_endpgm
	.section	.rodata,"a",@progbits
	.p2align	6, 0x0
	.amdhsa_kernel _ZL15flash_attn_tileILi192ELi128ELi2ELi16ELb1EEvPKcS1_S1_S1_S1_PKiPfP15HIP_vector_typeIfLj2EEffffjfiS5_IjLj3EEiiiiiiiiiiiliiliiiiil
		.amdhsa_group_segment_fixed_size 25600
		.amdhsa_private_segment_fixed_size 0
		.amdhsa_kernarg_size 464
		.amdhsa_user_sgpr_count 6
		.amdhsa_user_sgpr_private_segment_buffer 1
		.amdhsa_user_sgpr_dispatch_ptr 0
		.amdhsa_user_sgpr_queue_ptr 0
		.amdhsa_user_sgpr_kernarg_segment_ptr 1
		.amdhsa_user_sgpr_dispatch_id 0
		.amdhsa_user_sgpr_flat_scratch_init 0
		.amdhsa_user_sgpr_private_segment_size 0
		.amdhsa_wavefront_size32 1
		.amdhsa_uses_dynamic_stack 0
		.amdhsa_system_sgpr_private_segment_wavefront_offset 0
		.amdhsa_system_sgpr_workgroup_id_x 1
		.amdhsa_system_sgpr_workgroup_id_y 1
		.amdhsa_system_sgpr_workgroup_id_z 1
		.amdhsa_system_sgpr_workgroup_info 0
		.amdhsa_system_vgpr_workitem_id 1
		.amdhsa_next_free_vgpr 147
		.amdhsa_next_free_sgpr 40
		.amdhsa_reserve_vcc 1
		.amdhsa_reserve_flat_scratch 0
		.amdhsa_float_round_mode_32 0
		.amdhsa_float_round_mode_16_64 0
		.amdhsa_float_denorm_mode_32 3
		.amdhsa_float_denorm_mode_16_64 3
		.amdhsa_dx10_clamp 1
		.amdhsa_ieee_mode 1
		.amdhsa_fp16_overflow 0
		.amdhsa_workgroup_processor_mode 1
		.amdhsa_memory_ordered 1
		.amdhsa_forward_progress 1
		.amdhsa_shared_vgpr_count 0
		.amdhsa_exception_fp_ieee_invalid_op 0
		.amdhsa_exception_fp_denorm_src 0
		.amdhsa_exception_fp_ieee_div_zero 0
		.amdhsa_exception_fp_ieee_overflow 0
		.amdhsa_exception_fp_ieee_underflow 0
		.amdhsa_exception_fp_ieee_inexact 0
		.amdhsa_exception_int_div_zero 0
	.end_amdhsa_kernel
	.section	.text._ZL15flash_attn_tileILi192ELi128ELi2ELi16ELb1EEvPKcS1_S1_S1_S1_PKiPfP15HIP_vector_typeIfLj2EEffffjfiS5_IjLj3EEiiiiiiiiiiiliiliiiiil,"axG",@progbits,_ZL15flash_attn_tileILi192ELi128ELi2ELi16ELb1EEvPKcS1_S1_S1_S1_PKiPfP15HIP_vector_typeIfLj2EEffffjfiS5_IjLj3EEiiiiiiiiiiiliiliiiiil,comdat
.Lfunc_end19:
	.size	_ZL15flash_attn_tileILi192ELi128ELi2ELi16ELb1EEvPKcS1_S1_S1_S1_PKiPfP15HIP_vector_typeIfLj2EEffffjfiS5_IjLj3EEiiiiiiiiiiiliiliiiiil, .Lfunc_end19-_ZL15flash_attn_tileILi192ELi128ELi2ELi16ELb1EEvPKcS1_S1_S1_S1_PKiPfP15HIP_vector_typeIfLj2EEffffjfiS5_IjLj3EEiiiiiiiiiiiliiliiiiil
                                        ; -- End function
	.set _ZL15flash_attn_tileILi192ELi128ELi2ELi16ELb1EEvPKcS1_S1_S1_S1_PKiPfP15HIP_vector_typeIfLj2EEffffjfiS5_IjLj3EEiiiiiiiiiiiliiliiiiil.num_vgpr, 147
	.set _ZL15flash_attn_tileILi192ELi128ELi2ELi16ELb1EEvPKcS1_S1_S1_S1_PKiPfP15HIP_vector_typeIfLj2EEffffjfiS5_IjLj3EEiiiiiiiiiiiliiliiiiil.num_agpr, 0
	.set _ZL15flash_attn_tileILi192ELi128ELi2ELi16ELb1EEvPKcS1_S1_S1_S1_PKiPfP15HIP_vector_typeIfLj2EEffffjfiS5_IjLj3EEiiiiiiiiiiiliiliiiiil.numbered_sgpr, 40
	.set _ZL15flash_attn_tileILi192ELi128ELi2ELi16ELb1EEvPKcS1_S1_S1_S1_PKiPfP15HIP_vector_typeIfLj2EEffffjfiS5_IjLj3EEiiiiiiiiiiiliiliiiiil.num_named_barrier, 0
	.set _ZL15flash_attn_tileILi192ELi128ELi2ELi16ELb1EEvPKcS1_S1_S1_S1_PKiPfP15HIP_vector_typeIfLj2EEffffjfiS5_IjLj3EEiiiiiiiiiiiliiliiiiil.private_seg_size, 0
	.set _ZL15flash_attn_tileILi192ELi128ELi2ELi16ELb1EEvPKcS1_S1_S1_S1_PKiPfP15HIP_vector_typeIfLj2EEffffjfiS5_IjLj3EEiiiiiiiiiiiliiliiiiil.uses_vcc, 1
	.set _ZL15flash_attn_tileILi192ELi128ELi2ELi16ELb1EEvPKcS1_S1_S1_S1_PKiPfP15HIP_vector_typeIfLj2EEffffjfiS5_IjLj3EEiiiiiiiiiiiliiliiiiil.uses_flat_scratch, 0
	.set _ZL15flash_attn_tileILi192ELi128ELi2ELi16ELb1EEvPKcS1_S1_S1_S1_PKiPfP15HIP_vector_typeIfLj2EEffffjfiS5_IjLj3EEiiiiiiiiiiiliiliiiiil.has_dyn_sized_stack, 0
	.set _ZL15flash_attn_tileILi192ELi128ELi2ELi16ELb1EEvPKcS1_S1_S1_S1_PKiPfP15HIP_vector_typeIfLj2EEffffjfiS5_IjLj3EEiiiiiiiiiiiliiliiiiil.has_recursion, 0
	.set _ZL15flash_attn_tileILi192ELi128ELi2ELi16ELb1EEvPKcS1_S1_S1_S1_PKiPfP15HIP_vector_typeIfLj2EEffffjfiS5_IjLj3EEiiiiiiiiiiiliiliiiiil.has_indirect_call, 0
	.section	.AMDGPU.csdata,"",@progbits
; Kernel info:
; codeLenInByte = 33076
; TotalNumSgprs: 42
; NumVgprs: 147
; ScratchSize: 0
; MemoryBound: 0
; FloatMode: 240
; IeeeMode: 1
; LDSByteSize: 25600 bytes/workgroup (compile time only)
; SGPRBlocks: 0
; VGPRBlocks: 18
; NumSGPRsForWavesPerEU: 42
; NumVGPRsForWavesPerEU: 147
; Occupancy: 6
; WaveLimiterHint : 1
; COMPUTE_PGM_RSRC2:SCRATCH_EN: 0
; COMPUTE_PGM_RSRC2:USER_SGPR: 6
; COMPUTE_PGM_RSRC2:TRAP_HANDLER: 0
; COMPUTE_PGM_RSRC2:TGID_X_EN: 1
; COMPUTE_PGM_RSRC2:TGID_Y_EN: 1
; COMPUTE_PGM_RSRC2:TGID_Z_EN: 1
; COMPUTE_PGM_RSRC2:TIDIG_COMP_CNT: 1
	.section	.text._ZL15flash_attn_tileILi192ELi128ELi1ELi16ELb1EEvPKcS1_S1_S1_S1_PKiPfP15HIP_vector_typeIfLj2EEffffjfiS5_IjLj3EEiiiiiiiiiiiliiliiiiil,"axG",@progbits,_ZL15flash_attn_tileILi192ELi128ELi1ELi16ELb1EEvPKcS1_S1_S1_S1_PKiPfP15HIP_vector_typeIfLj2EEffffjfiS5_IjLj3EEiiiiiiiiiiiliiliiiiil,comdat
	.globl	_ZL15flash_attn_tileILi192ELi128ELi1ELi16ELb1EEvPKcS1_S1_S1_S1_PKiPfP15HIP_vector_typeIfLj2EEffffjfiS5_IjLj3EEiiiiiiiiiiiliiliiiiil ; -- Begin function _ZL15flash_attn_tileILi192ELi128ELi1ELi16ELb1EEvPKcS1_S1_S1_S1_PKiPfP15HIP_vector_typeIfLj2EEffffjfiS5_IjLj3EEiiiiiiiiiiiliiliiiiil
	.p2align	8
	.type	_ZL15flash_attn_tileILi192ELi128ELi1ELi16ELb1EEvPKcS1_S1_S1_S1_PKiPfP15HIP_vector_typeIfLj2EEffffjfiS5_IjLj3EEiiiiiiiiiiiliiliiiiil,@function
_ZL15flash_attn_tileILi192ELi128ELi1ELi16ELb1EEvPKcS1_S1_S1_S1_PKiPfP15HIP_vector_typeIfLj2EEffffjfiS5_IjLj3EEiiiiiiiiiiiliiliiiiil: ; @_ZL15flash_attn_tileILi192ELi128ELi1ELi16ELb1EEvPKcS1_S1_S1_S1_PKiPfP15HIP_vector_typeIfLj2EEffffjfiS5_IjLj3EEiiiiiiiiiiiliiliiiiil
; %bb.0:
	s_clause 0x1
	s_load_dwordx4 s[0:3], s[4:5], 0x5c
	s_load_dwordx2 s[30:31], s[4:5], 0x80
	s_mov_b32 s28, s7
	s_mov_b64 s[34:35], 0
	s_waitcnt lgkmcnt(0)
	s_ashr_i32 s7, s3, 31
	s_lshr_b32 s7, s7, 28
	s_add_i32 s7, s3, s7
	s_ashr_i32 s7, s7, 4
	v_cvt_f32_u32_e32 v2, s7
	s_sub_i32 s10, 0, s7
	v_rcp_iflag_f32_e32 v2, v2
	v_mul_f32_e32 v2, 0x4f7ffffe, v2
	v_cvt_u32_f32_e32 v2, v2
	v_readfirstlane_b32 s9, v2
	s_mul_i32 s10, s10, s9
	s_mul_hi_u32 s10, s9, s10
	s_add_i32 s9, s9, s10
	s_mul_hi_u32 s9, s8, s9
	s_mul_i32 s10, s9, s7
	s_add_i32 s11, s9, 1
	s_sub_i32 s10, s8, s10
	s_sub_i32 s12, s10, s7
	s_cmp_ge_u32 s10, s7
	s_cselect_b32 s9, s11, s9
	s_cselect_b32 s10, s12, s10
	s_add_i32 s11, s9, 1
	s_cmp_ge_u32 s10, s7
	s_cselect_b32 s29, s11, s9
	s_abs_i32 s7, s31
	s_lshl_b32 s8, s8, 4
	v_cvt_f32_u32_e32 v2, s7
	s_sub_i32 s10, 0, s7
	s_mul_i32 s11, s29, s3
	s_abs_i32 s12, s3
	s_sub_i32 s33, s8, s11
	v_rcp_iflag_f32_e32 v2, v2
	v_mul_f32_e32 v2, 0x4f7ffffe, v2
	v_cvt_u32_f32_e32 v2, v2
	v_readfirstlane_b32 s9, v2
	s_mul_i32 s10, s10, s9
	s_mul_hi_u32 s10, s9, s10
	s_add_i32 s9, s9, s10
	s_mul_hi_u32 s8, s12, s9
	s_xor_b32 s9, s3, s31
	s_mul_i32 s10, s8, s7
	s_ashr_i32 s9, s9, 31
	s_sub_i32 s10, s12, s10
	s_add_i32 s11, s8, 1
	s_sub_i32 s12, s10, s7
	s_cmp_ge_u32 s10, s7
	s_cselect_b32 s8, s11, s8
	s_cselect_b32 s10, s12, s10
	s_add_i32 s11, s8, 1
	s_cmp_ge_u32 s10, s7
	s_cselect_b32 s7, s11, s8
	s_xor_b32 s7, s7, s9
	s_sub_i32 s31, s7, s9
	s_clause 0x1
	s_load_dwordx16 s[8:23], s[4:5], 0x0
	s_load_dwordx2 s[36:37], s[4:5], 0xb8
	s_abs_i32 s7, s31
	v_cvt_f32_u32_e32 v2, s7
	v_rcp_iflag_f32_e32 v2, v2
	v_mul_f32_e32 v2, 0x4f7ffffe, v2
	s_waitcnt lgkmcnt(0)
	s_cmp_eq_u64 s[14:15], 0
	v_cvt_u32_f32_e32 v2, v2
	v_readfirstlane_b32 s38, v2
	s_cbranch_scc1 .LBB20_2
; %bb.1:
	s_abs_i32 s26, s36
	s_abs_i32 s27, s29
	v_cvt_f32_u32_e32 v2, s26
	s_sub_i32 s25, 0, s26
	v_rcp_iflag_f32_e32 v2, v2
	v_mul_f32_e32 v2, 0x4f7ffffe, v2
	v_cvt_u32_f32_e32 v2, v2
	v_readfirstlane_b32 s24, v2
	s_mul_i32 s25, s25, s24
	s_mul_hi_u32 s25, s24, s25
	s_add_i32 s24, s24, s25
	s_mul_hi_u32 s34, s27, s24
	s_load_dwordx2 s[24:25], s[4:5], 0xc8
	s_mul_i32 s34, s34, s26
	s_sub_i32 s27, s27, s34
	s_ashr_i32 s34, s29, 31
	s_sub_i32 s35, s27, s26
	s_cmp_ge_u32 s27, s26
	s_cselect_b32 s27, s35, s27
	s_sub_i32 s35, s27, s26
	s_cmp_ge_u32 s27, s26
	s_cselect_b32 s26, s35, s27
	s_xor_b32 s26, s26, s34
	s_sub_i32 s26, s26, s34
	s_ashr_i32 s27, s26, 31
	s_waitcnt lgkmcnt(0)
	s_mul_hi_u32 s34, s24, s26
	s_mul_i32 s27, s24, s27
	s_mul_i32 s25, s25, s26
	s_add_i32 s27, s34, s27
	s_mul_i32 s24, s24, s26
	s_add_i32 s27, s27, s25
	s_add_u32 s34, s14, s24
	s_addc_u32 s35, s15, s27
.LBB20_2:
	v_lshrrev_b32_e32 v2, 3, v1
	s_load_dwordx4 s[24:27], s[4:5], 0x70
	v_lshlrev_b32_e32 v12, 1, v1
	v_add_nc_u32_e32 v2, s6, v2
	v_and_b32_e32 v9, 14, v12
	v_mul_hi_u32 v3, s0, v2
	v_add_nc_u32_e32 v3, v2, v3
	s_waitcnt lgkmcnt(0)
	s_mul_i32 s0, s29, s26
	s_mov_b32 s14, s25
	v_lshrrev_b32_e32 v3, s1, v3
	s_mul_i32 s1, s33, s25
	s_ashr_i32 s15, s0, 31
	s_add_u32 s0, s8, s0
	s_addc_u32 s8, s9, s15
	v_mul_lo_u32 v3, v3, s2
	s_ashr_i32 s9, s1, 31
	s_add_u32 s26, s0, s1
	s_addc_u32 s8, s8, s9
	s_ashr_i32 s15, s25, 31
	s_ashr_i32 s25, s24, 31
	s_lshr_b64 s[0:1], s[24:25], 2
	v_sub_nc_u32_e32 v5, v2, v3
	s_lshr_b32 s9, s25, 2
	v_mad_u64_u32 v[3:4], null, s0, v5, 0
	s_lshr_b64 s[0:1], s[14:15], 2
	v_mad_u64_u32 v[6:7], null, s0, v9, 0
	v_mad_u64_u32 v[10:11], null, s9, v5, v[4:5]
	s_lshr_b32 s9, s15, 2
	v_mad_u64_u32 v[7:8], null, s9, v9, v[7:8]
	v_lshlrev_b32_e32 v8, 4, v0
	v_mov_b32_e32 v4, v10
	v_lshlrev_b64 v[3:4], 2, v[3:4]
	v_add_co_u32 v10, vcc_lo, s26, v3
	v_add_co_ci_u32_e64 v11, null, s8, v4, vcc_lo
	v_lshlrev_b64 v[3:4], 2, v[6:7]
	v_add_co_u32 v8, vcc_lo, v10, v8
	v_add_co_ci_u32_e64 v10, null, 0, v11, vcc_lo
	s_load_dword s8, s[4:5], 0x40
	v_add_co_u32 v3, vcc_lo, v8, v3
	v_add_co_ci_u32_e64 v4, null, v10, v4, vcc_lo
	v_cmp_gt_u32_e32 vcc_lo, 16, v0
	global_load_dwordx4 v[13:16], v[3:4], off
	s_waitcnt vmcnt(0) lgkmcnt(0)
	v_fma_mixlo_f16 v6, s8, v14, 0
	v_fma_mixlo_f16 v7, s8, v13, 0
	;; [unrolled: 1-line block ×4, first 2 shown]
	v_lshlrev_b32_e32 v14, 16, v6
	v_and_b32_e32 v7, 0xffff, v7
	v_lshlrev_b32_e32 v6, 3, v0
	v_lshlrev_b32_e32 v13, 16, v13
	v_and_b32_e32 v11, 0xffff, v11
	v_or_b32_e32 v15, v14, v7
	v_mul_u32_u24_e32 v7, 0x300, v1
	v_mad_u32_u24 v16, 0x300, v1, v6
	v_or3_b32 v14, v13, v11, 0
	v_or3_b32 v13, 0, 0, v15
	ds_write_b64 v16, v[13:14]
	s_and_saveexec_b32 s9, vcc_lo
	s_cbranch_execz .LBB20_4
; %bb.3:
	global_load_dwordx4 v[13:16], v[3:4], off offset:512
	s_waitcnt vmcnt(0)
	v_fma_mixlo_f16 v3, s8, v14, 0
	v_fma_mixlo_f16 v4, s8, v13, 0
	;; [unrolled: 1-line block ×4, first 2 shown]
	v_lshlrev_b32_e32 v3, 16, v3
	v_and_b32_e32 v4, 0xffff, v4
	v_and_b32_e32 v11, 0xffff, v11
	v_lshlrev_b32_e32 v13, 16, v13
	v_or_b32_e32 v3, v3, v4
	v_or3_b32 v4, v13, v11, 0
	v_add_nc_u32_e32 v11, v6, v7
	v_or3_b32 v3, 0, 0, v3
	ds_write_b64 v11, v[3:4] offset:256
.LBB20_4:
	s_or_b32 exec_lo, exec_lo, s9
	v_or_b32_e32 v11, 1, v12
	v_and_b32_e32 v13, 15, v11
	v_mad_u64_u32 v[3:4], null, s0, v13, 0
	v_mad_u64_u32 v[13:14], null, s1, v13, v[4:5]
	v_mov_b32_e32 v4, v13
	v_lshlrev_b64 v[3:4], 2, v[3:4]
	v_add_co_u32 v3, s0, v8, v3
	v_add_co_ci_u32_e64 v4, null, v10, v4, s0
	global_load_dwordx4 v[13:16], v[3:4], off
	s_waitcnt vmcnt(0)
	v_fma_mixlo_f16 v8, s8, v14, 0
	v_fma_mixlo_f16 v10, s8, v13, 0
	;; [unrolled: 1-line block ×4, first 2 shown]
	v_lshlrev_b32_e32 v8, 16, v8
	v_and_b32_e32 v10, 0xffff, v10
	v_and_b32_e32 v13, 0xffff, v13
	v_lshlrev_b32_e32 v14, 16, v14
	v_or_b32_e32 v8, v8, v10
	v_mad_u32_u24 v10, 0x180, v11, v6
	v_or3_b32 v14, v14, v13, 0
	v_or3_b32 v13, 0, 0, v8
	ds_write_b64 v10, v[13:14]
	s_and_saveexec_b32 s0, vcc_lo
	s_cbranch_execz .LBB20_6
; %bb.5:
	global_load_dwordx4 v[13:16], v[3:4], off offset:512
	v_mul_u32_u24_e32 v11, 0x180, v11
	s_waitcnt vmcnt(0)
	v_fma_mixlo_f16 v3, s8, v14, 0
	v_fma_mixlo_f16 v4, s8, v13, 0
	;; [unrolled: 1-line block ×4, first 2 shown]
	v_lshlrev_b32_e32 v3, 16, v3
	v_and_b32_e32 v4, 0xffff, v4
	v_and_b32_e32 v8, 0xffff, v8
	v_lshlrev_b32_e32 v10, 16, v10
	v_or_b32_e32 v3, v3, v4
	v_or3_b32 v4, v10, v8, 0
	v_add_nc_u32_e32 v8, v6, v11
	v_or3_b32 v3, 0, 0, v3
	ds_write_b64 v8, v[3:4] offset:256
.LBB20_6:
	s_or_b32 exec_lo, exec_lo, s0
	s_cmp_eq_u64 s[18:19], 0
	s_waitcnt lgkmcnt(0)
	s_barrier
	buffer_gl0_inv
	s_cbranch_scc1 .LBB20_8
; %bb.7:
	s_load_dword s0, s[4:5], 0xd0
	s_mov_b32 s1, 0
	s_waitcnt lgkmcnt(0)
	s_mul_i32 s0, s0, s29
	s_add_i32 s0, s0, s6
	s_lshl_b64 s[0:1], s[0:1], 2
	s_add_u32 s0, s18, s0
	s_addc_u32 s1, s19, s1
	s_load_dword s30, s[0:1], 0x0
.LBB20_8:
	v_mbcnt_lo_u32_b32 v8, -1, 0
	s_lshl_b32 s8, s28, 5
	s_waitcnt lgkmcnt(0)
	s_cmp_lt_i32 s8, s30
	s_cbranch_scc1 .LBB20_11
; %bb.9:
	v_mbcnt_lo_u32_b32 v3, -1, 0
	v_mov_b32_e32 v10, 32
	v_xor_b32_e32 v31, 16, v3
	v_xor_b32_e32 v27, 8, v3
	;; [unrolled: 1-line block ×5, first 2 shown]
	v_lshlrev_b32_e32 v11, 2, v0
	s_cbranch_execz .LBB20_12
; %bb.10:
	v_mov_b32_e32 v22, 0
	v_mov_b32_e32 v33, 0
	;; [unrolled: 1-line block ×8, first 2 shown]
	s_branch .LBB20_24
.LBB20_11:
                                        ; implicit-def: $vgpr3
                                        ; implicit-def: $vgpr10
                                        ; implicit-def: $vgpr31
                                        ; implicit-def: $vgpr27
                                        ; implicit-def: $vgpr28
                                        ; implicit-def: $vgpr29
                                        ; implicit-def: $vgpr30
	v_lshlrev_b32_e32 v11, 2, v0
.LBB20_12:
	s_clause 0x1
	s_load_dwordx4 s[24:27], s[4:5], 0x98
	s_load_dwordx2 s[0:1], s[4:5], 0x8c
	s_sub_i32 s6, 0, s7
	s_abs_i32 s15, s33
	s_mul_i32 s6, s6, s38
	v_lshrrev_b32_e32 v3, 3, v0
	s_mul_hi_u32 s6, s38, s6
	s_ashr_i32 s36, s33, 31
	s_add_i32 s38, s38, s6
	s_ashr_i32 s31, s31, 31
	s_mul_hi_u32 s6, s15, s38
	s_ashr_i32 s38, s29, 31
	v_lshl_add_u32 v10, v1, 2, v3
	s_ashr_i32 s37, s37, 1
	s_load_dwordx2 s[18:19], s[4:5], 0xa8
	s_mul_i32 s39, s6, s7
	v_lshrrev_b32_e32 v13, 4, v0
	v_and_b32_e32 v14, 28, v11
	v_mov_b32_e32 v25, 0
	v_mov_b32_e32 v32, 0xfeffffff
	s_waitcnt lgkmcnt(0)
	s_ashr_i32 s9, s26, 2
	s_ashr_i32 s14, s0, 2
	s_mul_hi_u32 s0, s24, s29
	s_mul_i32 s26, s24, s38
	s_mul_i32 s25, s25, s29
	s_add_i32 s0, s0, s26
	s_mul_i32 s24, s24, s29
	s_add_i32 s0, s0, s25
	s_add_u32 s24, s10, s24
	s_addc_u32 s0, s11, s0
	s_sub_i32 s10, s15, s39
	s_xor_b32 s11, s36, s31
	s_add_i32 s15, s6, 1
	s_sub_i32 s25, s10, s7
	v_mul_lo_u32 v3, s14, v10
	s_cmp_ge_u32 s10, s7
	v_add_nc_u32_e32 v18, v13, v12
	s_cselect_b32 s6, s15, s6
	s_cselect_b32 s10, s25, s10
	s_add_i32 s15, s6, 1
	s_cmp_ge_u32 s10, s7
	v_mul_lo_u32 v12, s9, v18
	s_cselect_b32 s6, s15, s6
	v_ashrrev_i32_e32 v4, 31, v3
	s_xor_b32 s6, s6, s11
	v_mul_u32_u24_e32 v10, 0x90, v10
	s_sub_i32 s6, s6, s11
	v_lshlrev_b32_e32 v15, 2, v14
	v_lshlrev_b64 v[3:4], 2, v[3:4]
	s_mul_i32 s1, s6, s1
	v_ashrrev_i32_e32 v13, 31, v12
	s_load_dword s10, s[4:5], 0x54
	s_mul_i32 s15, s19, s29
	s_ashr_i32 s19, s1, 31
	s_mul_hi_u32 s7, s18, s29
	s_mul_i32 s11, s18, s38
	s_add_u32 s1, s24, s1
	v_add3_u32 v14, v10, v15, 0x1800
	v_and_b32_e32 v10, 60, v11
	s_addc_u32 s0, s0, s19
	s_add_i32 s7, s7, s11
	v_add_co_u32 v3, vcc_lo, s1, v3
	s_mul_i32 s11, s18, s29
	v_lshlrev_b64 v[12:13], 2, v[12:13]
	s_add_i32 s7, s7, s15
	s_mul_i32 s6, s6, s27
	v_add_co_ci_u32_e64 v4, null, s0, v4, vcc_lo
	s_add_u32 s11, s12, s11
	s_addc_u32 s7, s13, s7
	s_ashr_i32 s12, s6, 31
	v_lshlrev_b32_e32 v10, 2, v10
	s_add_u32 s6, s11, s6
	v_add_co_u32 v15, vcc_lo, v3, v15
	s_addc_u32 s7, s7, s12
	v_add_co_ci_u32_e64 v16, null, 0, v4, vcc_lo
	v_mad_u64_u32 v[3:4], null, v5, s37, v[0:1]
	v_add_co_u32 v5, vcc_lo, s6, v12
	v_lshl_or_b32 v4, v18, 8, v10
	v_add_co_ci_u32_e64 v12, null, s7, v13, vcc_lo
	s_movk_i32 s11, 0x1800
	v_add_co_u32 v19, vcc_lo, v5, v10
	v_mad_u32_u24 v17, 0x90, v0, s11
	v_lshl_add_u32 v1, v1, 7, 0x2a00
	v_add_nc_u32_e32 v18, 0x1800, v4
	v_add_co_ci_u32_e64 v20, null, 0, v12, vcc_lo
	v_mov_b32_e32 v13, 0
	v_mov_b32_e32 v10, 32
	;; [unrolled: 1-line block ×8, first 2 shown]
	s_add_u32 s0, s4, 0xd0
	s_addc_u32 s1, s5, 0
	s_mov_b32 s11, 0xbbbac73d
.LBB20_13:                              ; =>This Inner Loop Header: Depth=1
	s_mul_hi_i32 s7, s8, s14
	s_mul_i32 s6, s8, s14
	v_mov_b32_e32 v33, 0
	s_lshl_b64 s[6:7], s[6:7], 2
	v_add_co_u32 v4, vcc_lo, v15, s6
	v_add_co_ci_u32_e64 v5, null, s7, v16, vcc_lo
	global_load_dwordx4 v[27:30], v[4:5], off
	s_waitcnt vmcnt(0)
	ds_write_b128 v14, v[27:30]
	s_waitcnt lgkmcnt(0)
	s_barrier
	buffer_gl0_inv
	ds_read_b128 v[28:31], v17
	ds_read_b128 v[34:37], v7
	ds_read_b128 v[38:41], v7 offset:384
	v_mov_b32_e32 v27, 0
	s_waitcnt lgkmcnt(1)
	;;#ASMSTART
	v_dot2_f32_f16 v27, v28, v34, v27
	;;#ASMEND
	;;#ASMSTART
	v_dot2_f32_f16 v27, v29, v35, v27
	;;#ASMEND
	;;#ASMSTART
	v_dot2_f32_f16 v27, v30, v36, v27
	;;#ASMEND
	;;#ASMSTART
	v_dot2_f32_f16 v27, v31, v37, v27
	;;#ASMEND
	s_waitcnt lgkmcnt(0)
	;;#ASMSTART
	v_dot2_f32_f16 v33, v28, v38, v33
	;;#ASMEND
	;;#ASMSTART
	v_dot2_f32_f16 v33, v29, v39, v33
	;;#ASMEND
	;;#ASMSTART
	v_dot2_f32_f16 v33, v30, v40, v33
	;;#ASMEND
	;;#ASMSTART
	v_dot2_f32_f16 v33, v31, v41, v33
	;;#ASMEND
	ds_read_b128 v[28:31], v17 offset:16
	ds_read_b128 v[34:37], v7 offset:16
	ds_read_b128 v[38:41], v7 offset:400
	s_waitcnt lgkmcnt(1)
	;;#ASMSTART
	v_dot2_f32_f16 v27, v28, v34, v27
	;;#ASMEND
	;;#ASMSTART
	v_dot2_f32_f16 v27, v29, v35, v27
	;;#ASMEND
	;;#ASMSTART
	v_dot2_f32_f16 v27, v30, v36, v27
	;;#ASMEND
	;;#ASMSTART
	v_dot2_f32_f16 v27, v31, v37, v27
	;;#ASMEND
	s_waitcnt lgkmcnt(0)
	;;#ASMSTART
	v_dot2_f32_f16 v33, v28, v38, v33
	;;#ASMEND
	;;#ASMSTART
	v_dot2_f32_f16 v33, v29, v39, v33
	;;#ASMEND
	;;#ASMSTART
	v_dot2_f32_f16 v33, v30, v40, v33
	;;#ASMEND
	;;#ASMSTART
	v_dot2_f32_f16 v33, v31, v41, v33
	;;#ASMEND
	ds_read_b128 v[28:31], v17 offset:32
	ds_read_b128 v[34:37], v7 offset:32
	ds_read_b128 v[38:41], v7 offset:416
	;; [unrolled: 29-line block ×7, first 2 shown]
	s_waitcnt lgkmcnt(1)
	;;#ASMSTART
	v_dot2_f32_f16 v27, v28, v34, v27
	;;#ASMEND
	;;#ASMSTART
	v_dot2_f32_f16 v27, v29, v35, v27
	;;#ASMEND
	;; [unrolled: 3-line block ×4, first 2 shown]
	s_waitcnt lgkmcnt(0)
	;;#ASMSTART
	v_dot2_f32_f16 v33, v28, v38, v33
	;;#ASMEND
	;;#ASMSTART
	v_dot2_f32_f16 v33, v29, v39, v33
	;;#ASMEND
	;; [unrolled: 3-line block ×4, first 2 shown]
	s_barrier
	buffer_gl0_inv
	global_load_dwordx4 v[28:31], v[4:5], off offset:128
	s_waitcnt vmcnt(0)
	ds_write_b128 v14, v[28:31]
	s_waitcnt lgkmcnt(0)
	s_barrier
	buffer_gl0_inv
	ds_read_b128 v[28:31], v17
	ds_read_b128 v[34:37], v7 offset:128
	ds_read_b128 v[38:41], v7 offset:512
	s_waitcnt lgkmcnt(1)
	;;#ASMSTART
	v_dot2_f32_f16 v27, v28, v34, v27
	;;#ASMEND
	;;#ASMSTART
	v_dot2_f32_f16 v27, v29, v35, v27
	;;#ASMEND
	;;#ASMSTART
	v_dot2_f32_f16 v27, v30, v36, v27
	;;#ASMEND
	;;#ASMSTART
	v_dot2_f32_f16 v27, v31, v37, v27
	;;#ASMEND
	s_waitcnt lgkmcnt(0)
	;;#ASMSTART
	v_dot2_f32_f16 v33, v28, v38, v33
	;;#ASMEND
	;;#ASMSTART
	v_dot2_f32_f16 v33, v29, v39, v33
	;;#ASMEND
	;;#ASMSTART
	v_dot2_f32_f16 v33, v30, v40, v33
	;;#ASMEND
	;;#ASMSTART
	v_dot2_f32_f16 v33, v31, v41, v33
	;;#ASMEND
	ds_read_b128 v[28:31], v17 offset:16
	ds_read_b128 v[34:37], v7 offset:144
	ds_read_b128 v[38:41], v7 offset:528
	s_waitcnt lgkmcnt(1)
	;;#ASMSTART
	v_dot2_f32_f16 v27, v28, v34, v27
	;;#ASMEND
	;;#ASMSTART
	v_dot2_f32_f16 v27, v29, v35, v27
	;;#ASMEND
	;;#ASMSTART
	v_dot2_f32_f16 v27, v30, v36, v27
	;;#ASMEND
	;;#ASMSTART
	v_dot2_f32_f16 v27, v31, v37, v27
	;;#ASMEND
	s_waitcnt lgkmcnt(0)
	;;#ASMSTART
	v_dot2_f32_f16 v33, v28, v38, v33
	;;#ASMEND
	;;#ASMSTART
	v_dot2_f32_f16 v33, v29, v39, v33
	;;#ASMEND
	;;#ASMSTART
	v_dot2_f32_f16 v33, v30, v40, v33
	;;#ASMEND
	;;#ASMSTART
	v_dot2_f32_f16 v33, v31, v41, v33
	;;#ASMEND
	ds_read_b128 v[28:31], v17 offset:32
	ds_read_b128 v[34:37], v7 offset:160
	ds_read_b128 v[38:41], v7 offset:544
	s_waitcnt lgkmcnt(1)
	;;#ASMSTART
	v_dot2_f32_f16 v27, v28, v34, v27
	;;#ASMEND
	;;#ASMSTART
	v_dot2_f32_f16 v27, v29, v35, v27
	;;#ASMEND
	;;#ASMSTART
	v_dot2_f32_f16 v27, v30, v36, v27
	;;#ASMEND
	;;#ASMSTART
	v_dot2_f32_f16 v27, v31, v37, v27
	;;#ASMEND
	s_waitcnt lgkmcnt(0)
	;;#ASMSTART
	v_dot2_f32_f16 v33, v28, v38, v33
	;;#ASMEND
	;;#ASMSTART
	v_dot2_f32_f16 v33, v29, v39, v33
	;;#ASMEND
	;;#ASMSTART
	v_dot2_f32_f16 v33, v30, v40, v33
	;;#ASMEND
	;;#ASMSTART
	v_dot2_f32_f16 v33, v31, v41, v33
	;;#ASMEND
	ds_read_b128 v[28:31], v17 offset:48
	ds_read_b128 v[34:37], v7 offset:176
	ds_read_b128 v[38:41], v7 offset:560
	s_waitcnt lgkmcnt(1)
	;;#ASMSTART
	v_dot2_f32_f16 v27, v28, v34, v27
	;;#ASMEND
	;;#ASMSTART
	v_dot2_f32_f16 v27, v29, v35, v27
	;;#ASMEND
	;;#ASMSTART
	v_dot2_f32_f16 v27, v30, v36, v27
	;;#ASMEND
	;;#ASMSTART
	v_dot2_f32_f16 v27, v31, v37, v27
	;;#ASMEND
	s_waitcnt lgkmcnt(0)
	;;#ASMSTART
	v_dot2_f32_f16 v33, v28, v38, v33
	;;#ASMEND
	;;#ASMSTART
	v_dot2_f32_f16 v33, v29, v39, v33
	;;#ASMEND
	;;#ASMSTART
	v_dot2_f32_f16 v33, v30, v40, v33
	;;#ASMEND
	;;#ASMSTART
	v_dot2_f32_f16 v33, v31, v41, v33
	;;#ASMEND
	ds_read_b128 v[28:31], v17 offset:64
	ds_read_b128 v[34:37], v7 offset:192
	ds_read_b128 v[38:41], v7 offset:576
	s_waitcnt lgkmcnt(1)
	;;#ASMSTART
	v_dot2_f32_f16 v27, v28, v34, v27
	;;#ASMEND
	;;#ASMSTART
	v_dot2_f32_f16 v27, v29, v35, v27
	;;#ASMEND
	;;#ASMSTART
	v_dot2_f32_f16 v27, v30, v36, v27
	;;#ASMEND
	;;#ASMSTART
	v_dot2_f32_f16 v27, v31, v37, v27
	;;#ASMEND
	s_waitcnt lgkmcnt(0)
	;;#ASMSTART
	v_dot2_f32_f16 v33, v28, v38, v33
	;;#ASMEND
	;;#ASMSTART
	v_dot2_f32_f16 v33, v29, v39, v33
	;;#ASMEND
	;;#ASMSTART
	v_dot2_f32_f16 v33, v30, v40, v33
	;;#ASMEND
	;;#ASMSTART
	v_dot2_f32_f16 v33, v31, v41, v33
	;;#ASMEND
	ds_read_b128 v[28:31], v17 offset:80
	ds_read_b128 v[34:37], v7 offset:208
	ds_read_b128 v[38:41], v7 offset:592
	s_waitcnt lgkmcnt(1)
	;;#ASMSTART
	v_dot2_f32_f16 v27, v28, v34, v27
	;;#ASMEND
	;;#ASMSTART
	v_dot2_f32_f16 v27, v29, v35, v27
	;;#ASMEND
	;;#ASMSTART
	v_dot2_f32_f16 v27, v30, v36, v27
	;;#ASMEND
	;;#ASMSTART
	v_dot2_f32_f16 v27, v31, v37, v27
	;;#ASMEND
	s_waitcnt lgkmcnt(0)
	;;#ASMSTART
	v_dot2_f32_f16 v33, v28, v38, v33
	;;#ASMEND
	;;#ASMSTART
	v_dot2_f32_f16 v33, v29, v39, v33
	;;#ASMEND
	;;#ASMSTART
	v_dot2_f32_f16 v33, v30, v40, v33
	;;#ASMEND
	;;#ASMSTART
	v_dot2_f32_f16 v33, v31, v41, v33
	;;#ASMEND
	ds_read_b128 v[28:31], v17 offset:96
	ds_read_b128 v[34:37], v7 offset:224
	ds_read_b128 v[38:41], v7 offset:608
	s_waitcnt lgkmcnt(1)
	;;#ASMSTART
	v_dot2_f32_f16 v27, v28, v34, v27
	;;#ASMEND
	;;#ASMSTART
	v_dot2_f32_f16 v27, v29, v35, v27
	;;#ASMEND
	;;#ASMSTART
	v_dot2_f32_f16 v27, v30, v36, v27
	;;#ASMEND
	;;#ASMSTART
	v_dot2_f32_f16 v27, v31, v37, v27
	;;#ASMEND
	s_waitcnt lgkmcnt(0)
	;;#ASMSTART
	v_dot2_f32_f16 v33, v28, v38, v33
	;;#ASMEND
	;;#ASMSTART
	v_dot2_f32_f16 v33, v29, v39, v33
	;;#ASMEND
	;;#ASMSTART
	v_dot2_f32_f16 v33, v30, v40, v33
	;;#ASMEND
	;;#ASMSTART
	v_dot2_f32_f16 v33, v31, v41, v33
	;;#ASMEND
	ds_read_b128 v[28:31], v17 offset:112
	ds_read_b128 v[34:37], v7 offset:240
	ds_read_b128 v[38:41], v7 offset:624
	s_waitcnt lgkmcnt(1)
	;;#ASMSTART
	v_dot2_f32_f16 v27, v28, v34, v27
	;;#ASMEND
	;;#ASMSTART
	v_dot2_f32_f16 v27, v29, v35, v27
	;;#ASMEND
	;; [unrolled: 3-line block ×4, first 2 shown]
	s_waitcnt lgkmcnt(0)
	;;#ASMSTART
	v_dot2_f32_f16 v33, v28, v38, v33
	;;#ASMEND
	;;#ASMSTART
	v_dot2_f32_f16 v33, v29, v39, v33
	;;#ASMEND
	;; [unrolled: 3-line block ×4, first 2 shown]
	s_barrier
	buffer_gl0_inv
	global_load_dwordx4 v[28:31], v[4:5], off offset:256
	v_add_nc_u32_e32 v4, s8, v3
	v_ashrrev_i32_e32 v5, 31, v4
	v_lshlrev_b64 v[4:5], 1, v[4:5]
	v_add_co_u32 v4, vcc_lo, s34, v4
	v_add_co_ci_u32_e64 v5, null, s35, v5, vcc_lo
	s_waitcnt vmcnt(0)
	ds_write_b128 v14, v[28:31]
	s_waitcnt lgkmcnt(0)
	s_barrier
	buffer_gl0_inv
	ds_read_b128 v[28:31], v17
	ds_read_b128 v[34:37], v7 offset:256
	ds_read_b128 v[38:41], v7 offset:640
	s_waitcnt lgkmcnt(1)
	;;#ASMSTART
	v_dot2_f32_f16 v27, v28, v34, v27
	;;#ASMEND
	;;#ASMSTART
	v_dot2_f32_f16 v27, v29, v35, v27
	;;#ASMEND
	;;#ASMSTART
	v_dot2_f32_f16 v27, v30, v36, v27
	;;#ASMEND
	;;#ASMSTART
	v_dot2_f32_f16 v27, v31, v37, v27
	;;#ASMEND
	s_waitcnt lgkmcnt(0)
	;;#ASMSTART
	v_dot2_f32_f16 v33, v28, v38, v33
	;;#ASMEND
	;;#ASMSTART
	v_dot2_f32_f16 v33, v29, v39, v33
	;;#ASMEND
	;;#ASMSTART
	v_dot2_f32_f16 v33, v30, v40, v33
	;;#ASMEND
	;;#ASMSTART
	v_dot2_f32_f16 v33, v31, v41, v33
	;;#ASMEND
	ds_read_b128 v[28:31], v17 offset:16
	ds_read_b128 v[34:37], v7 offset:272
	ds_read_b128 v[38:41], v7 offset:656
	s_waitcnt lgkmcnt(1)
	;;#ASMSTART
	v_dot2_f32_f16 v27, v28, v34, v27
	;;#ASMEND
	;;#ASMSTART
	v_dot2_f32_f16 v27, v29, v35, v27
	;;#ASMEND
	;;#ASMSTART
	v_dot2_f32_f16 v27, v30, v36, v27
	;;#ASMEND
	;;#ASMSTART
	v_dot2_f32_f16 v27, v31, v37, v27
	;;#ASMEND
	s_waitcnt lgkmcnt(0)
	;;#ASMSTART
	v_dot2_f32_f16 v33, v28, v38, v33
	;;#ASMEND
	;;#ASMSTART
	v_dot2_f32_f16 v33, v29, v39, v33
	;;#ASMEND
	;;#ASMSTART
	v_dot2_f32_f16 v33, v30, v40, v33
	;;#ASMEND
	;;#ASMSTART
	v_dot2_f32_f16 v33, v31, v41, v33
	;;#ASMEND
	ds_read_b128 v[28:31], v17 offset:32
	;; [unrolled: 29-line block ×7, first 2 shown]
	ds_read_b128 v[34:37], v7 offset:368
	ds_read_b128 v[38:41], v7 offset:752
	s_waitcnt lgkmcnt(1)
	;;#ASMSTART
	v_dot2_f32_f16 v27, v28, v34, v27
	;;#ASMEND
	;;#ASMSTART
	v_dot2_f32_f16 v27, v29, v35, v27
	;;#ASMEND
	;;#ASMSTART
	v_dot2_f32_f16 v27, v30, v36, v27
	;;#ASMEND
	;;#ASMSTART
	v_dot2_f32_f16 v27, v31, v37, v27
	;;#ASMEND
	s_waitcnt lgkmcnt(0)
	;;#ASMSTART
	v_dot2_f32_f16 v33, v28, v38, v33
	;;#ASMEND
	;;#ASMSTART
	v_dot2_f32_f16 v33, v29, v39, v33
	;;#ASMEND
	;; [unrolled: 3-line block ×4, first 2 shown]
	global_load_ushort v4, v[4:5], off
	v_cmp_ngt_f32_e64 s6, 0x3f200000, |v27|
                                        ; implicit-def: $vgpr5
	s_and_saveexec_b32 s7, s6
	s_xor_b32 s6, exec_lo, s7
	s_cbranch_execz .LBB20_15
; %bb.14:                               ;   in Loop: Header=BB20_13 Depth=1
	v_add_f32_e64 v5, |v27|, |v27|
	v_mul_f32_e32 v28, 0x3fb8aa3b, v5
	v_cmp_ngt_f32_e32 vcc_lo, 0xc2ce8ed0, v5
	v_rndne_f32_e32 v29, v28
	v_fma_f32 v30, 0x3fb8aa3b, v5, -v28
	v_sub_f32_e32 v28, v28, v29
	v_fmac_f32_e32 v30, 0x32a5705f, v5
	v_cvt_i32_f32_e32 v29, v29
	v_add_f32_e32 v28, v28, v30
	v_exp_f32_e32 v28, v28
	v_ldexp_f32 v28, v28, v29
	v_cndmask_b32_e32 v28, 0, v28, vcc_lo
	v_cmp_nlt_f32_e32 vcc_lo, 0x42b17218, v5
	v_cndmask_b32_e32 v5, 0x7f800000, v28, vcc_lo
	v_add_f32_e32 v5, 1.0, v5
	v_rcp_f32_e32 v5, v5
	v_fma_f32 v5, v5, -2.0, 1.0
.LBB20_15:                              ;   in Loop: Header=BB20_13 Depth=1
	s_andn2_saveexec_b32 s6, s6
	s_cbranch_execz .LBB20_17
; %bb.16:                               ;   in Loop: Header=BB20_13 Depth=1
	v_mul_f32_e32 v5, v27, v27
	v_fmaak_f32 v28, s11, v5, 0x3ca908c9
	v_fmaak_f32 v28, v5, v28, 0xbd5c1c4e
	;; [unrolled: 1-line block ×4, first 2 shown]
	v_mul_f32_e64 v28, |v27|, v28
	v_fma_f32 v5, v5, v28, |v27|
.LBB20_17:                              ;   in Loop: Header=BB20_13 Depth=1
	s_or_b32 exec_lo, exec_lo, s6
	v_bfi_b32 v5, 0x7fffffff, v5, v27
	v_xor_b32_e32 v31, 16, v8
	v_max_f32_e32 v29, v32, v32
	v_cmp_ngt_f32_e64 s6, 0x3f200000, |v33|
	s_waitcnt vmcnt(0)
	v_fma_mix_f32 v5, s10, v5, v4 op_sel_hi:[0,0,1]
	v_cmp_gt_i32_e32 vcc_lo, 32, v31
	v_add_f32_e32 v28, 0x40051340, v5
	v_cndmask_b32_e32 v27, v8, v31, vcc_lo
	v_max_f32_e32 v28, v29, v28
	v_lshlrev_b32_e32 v34, 2, v27
	v_xor_b32_e32 v27, 8, v8
	ds_bpermute_b32 v29, v34, v28
	v_cmp_gt_i32_e32 vcc_lo, 32, v27
	v_cndmask_b32_e32 v30, v8, v27, vcc_lo
	v_lshlrev_b32_e32 v35, 2, v30
	s_waitcnt lgkmcnt(0)
	v_max_f32_e32 v29, v29, v29
	v_max_f32_e32 v29, v28, v29
	v_xor_b32_e32 v28, 4, v8
	ds_bpermute_b32 v30, v35, v29
	v_cmp_gt_i32_e32 vcc_lo, 32, v28
	v_cndmask_b32_e32 v36, v8, v28, vcc_lo
	v_lshlrev_b32_e32 v36, 2, v36
	s_waitcnt lgkmcnt(0)
	v_max_f32_e32 v30, v30, v30
	v_max_f32_e32 v30, v29, v30
	v_xor_b32_e32 v29, 2, v8
	ds_bpermute_b32 v37, v36, v30
	v_cmp_gt_i32_e32 vcc_lo, 32, v29
	v_cndmask_b32_e32 v38, v8, v29, vcc_lo
	s_waitcnt lgkmcnt(0)
	v_max_f32_e32 v39, v37, v37
	v_lshlrev_b32_e32 v37, 2, v38
	v_max_f32_e32 v38, v30, v39
	v_xor_b32_e32 v30, 1, v8
	ds_bpermute_b32 v39, v37, v38
	v_cmp_gt_i32_e32 vcc_lo, 32, v30
	v_cndmask_b32_e32 v40, v8, v30, vcc_lo
	s_waitcnt lgkmcnt(0)
	v_max_f32_e32 v41, v39, v39
	v_lshlrev_b32_e32 v39, 2, v40
	v_max_f32_e32 v38, v38, v41
                                        ; implicit-def: $vgpr41
	ds_bpermute_b32 v40, v39, v38
	s_and_saveexec_b32 s7, s6
	s_xor_b32 s6, exec_lo, s7
	s_cbranch_execz .LBB20_19
; %bb.18:                               ;   in Loop: Header=BB20_13 Depth=1
	v_add_f32_e64 v41, |v33|, |v33|
	v_mul_f32_e32 v42, 0x3fb8aa3b, v41
	v_cmp_ngt_f32_e32 vcc_lo, 0xc2ce8ed0, v41
	v_rndne_f32_e32 v43, v42
	v_fma_f32 v44, 0x3fb8aa3b, v41, -v42
	v_sub_f32_e32 v42, v42, v43
	v_fmac_f32_e32 v44, 0x32a5705f, v41
	v_cvt_i32_f32_e32 v43, v43
	v_add_f32_e32 v42, v42, v44
	v_exp_f32_e32 v42, v42
	v_ldexp_f32 v42, v42, v43
	v_cndmask_b32_e32 v42, 0, v42, vcc_lo
	v_cmp_nlt_f32_e32 vcc_lo, 0x42b17218, v41
	v_cndmask_b32_e32 v41, 0x7f800000, v42, vcc_lo
	v_add_f32_e32 v41, 1.0, v41
	v_rcp_f32_e32 v41, v41
	v_fma_f32 v41, v41, -2.0, 1.0
.LBB20_19:                              ;   in Loop: Header=BB20_13 Depth=1
	s_andn2_saveexec_b32 s6, s6
	s_cbranch_execz .LBB20_21
; %bb.20:                               ;   in Loop: Header=BB20_13 Depth=1
	v_mul_f32_e32 v41, v33, v33
	v_fmaak_f32 v42, s11, v41, 0x3ca908c9
	v_fmaak_f32 v42, v41, v42, 0xbd5c1c4e
	;; [unrolled: 1-line block ×4, first 2 shown]
	v_mul_f32_e64 v42, |v33|, v42
	v_fma_f32 v41, v41, v42, |v33|
.LBB20_21:                              ;   in Loop: Header=BB20_13 Depth=1
	s_or_b32 exec_lo, exec_lo, s6
	s_mul_hi_i32 s7, s8, s9
	s_mul_i32 s6, s8, s9
	s_waitcnt lgkmcnt(0)
	s_lshl_b64 s[6:7], s[6:7], 2
	s_barrier
	v_add_co_u32 v42, vcc_lo, v19, s6
	v_add_co_ci_u32_e64 v43, null, s7, v20, vcc_lo
	buffer_gl0_inv
	v_cvt_f32_f16_e32 v46, v4
	v_bfi_b32 v4, 0x7fffffff, v41, v33
	global_load_dwordx4 v[42:45], v[42:43], off
	s_or_b32 s6, s8, 16
	s_mul_hi_i32 s7, s6, s9
	v_fmac_f32_e32 v46, s10, v4
	v_max_f32_e32 v4, v26, v26
	s_mul_i32 s6, s6, s9
	s_lshl_b64 s[6:7], s[6:7], 2
	v_add_f32_e32 v33, 0x40051340, v46
	v_max_f32_e32 v4, v4, v33
	ds_bpermute_b32 v33, v34, v4
	s_waitcnt lgkmcnt(0)
	v_max_f32_e32 v33, v33, v33
	v_max_f32_e32 v4, v4, v33
	ds_bpermute_b32 v33, v35, v4
	v_max_f32_e32 v35, v38, v38
	s_waitcnt lgkmcnt(0)
	v_max_f32_e32 v33, v33, v33
	v_max_f32_e32 v4, v4, v33
	ds_bpermute_b32 v33, v36, v4
	s_waitcnt lgkmcnt(0)
	v_max_f32_e32 v33, v33, v33
	v_max_f32_e32 v4, v4, v33
	ds_bpermute_b32 v33, v37, v4
	v_add_nc_u32_e32 v37, v1, v11
	s_waitcnt lgkmcnt(0)
	v_max_f32_e32 v33, v33, v33
	v_max_f32_e32 v33, v4, v33
	;; [unrolled: 1-line block ×3, first 2 shown]
	ds_bpermute_b32 v34, v39, v33
	v_max_f32_e32 v4, v35, v4
	v_sub_f32_e32 v35, v5, v4
	v_sub_f32_e32 v36, v32, v4
	v_add_nc_u32_e32 v32, 0x1800, v6
	v_cmp_ngt_f32_e32 vcc_lo, 0xc2ce8ed0, v35
	s_waitcnt lgkmcnt(0)
	v_max_f32_e32 v34, v34, v34
	v_max_f32_e32 v5, v33, v34
	v_mul_f32_e32 v33, 0x3fb8aa3b, v35
	v_mul_f32_e32 v34, 0x3fb8aa3b, v36
	v_sub_f32_e32 v38, v46, v5
	v_fma_f32 v39, 0x3fb8aa3b, v35, -v33
	v_rndne_f32_e32 v40, v33
	v_fma_f32 v41, 0x3fb8aa3b, v36, -v34
	v_rndne_f32_e32 v46, v34
	v_mul_f32_e32 v47, 0x3fb8aa3b, v38
	v_fmac_f32_e32 v39, 0x32a5705f, v35
	v_sub_f32_e32 v33, v33, v40
	v_fmac_f32_e32 v41, 0x32a5705f, v36
	v_sub_f32_e32 v34, v34, v46
	v_fma_f32 v48, 0x3fb8aa3b, v38, -v47
	v_rndne_f32_e32 v49, v47
	v_add_f32_e32 v33, v33, v39
	v_sub_f32_e32 v50, v26, v5
	v_add_f32_e32 v34, v34, v41
	v_fmac_f32_e32 v48, 0x32a5705f, v38
	v_sub_f32_e32 v39, v47, v49
	v_exp_f32_e32 v33, v33
	v_cvt_i32_f32_e32 v40, v40
	v_exp_f32_e32 v34, v34
	v_mul_f32_e32 v41, 0x3fb8aa3b, v50
	v_add_f32_e32 v39, v39, v48
	v_cvt_i32_f32_e32 v46, v46
	v_add_nc_u32_e32 v26, 0x2000, v6
	v_fma_f32 v47, 0x3fb8aa3b, v50, -v41
	v_exp_f32_e32 v39, v39
	v_ldexp_f32 v33, v33, v40
	v_rndne_f32_e32 v48, v41
	v_cvt_i32_f32_e32 v40, v49
	v_ldexp_f32 v34, v34, v46
	v_fmac_f32_e32 v47, 0x32a5705f, v50
	v_cndmask_b32_e32 v33, 0, v33, vcc_lo
	v_cmp_ngt_f32_e32 vcc_lo, 0xc2ce8ed0, v36
	v_sub_f32_e32 v41, v41, v48
	v_ldexp_f32 v39, v39, v40
	v_cndmask_b32_e32 v40, 0, v34, vcc_lo
	v_cmp_ngt_f32_e32 vcc_lo, 0xc2ce8ed0, v38
	v_add_f32_e32 v41, v41, v47
	v_cndmask_b32_e32 v39, 0, v39, vcc_lo
	v_cmp_nlt_f32_e32 vcc_lo, 0x42b17218, v35
	v_exp_f32_e32 v41, v41
	v_cvt_i32_f32_e32 v35, v48
	v_cndmask_b32_e32 v34, 0x7f800000, v33, vcc_lo
	v_cmp_nlt_f32_e32 vcc_lo, 0x42b17218, v38
	v_cndmask_b32_e32 v33, 0x7f800000, v39, vcc_lo
	v_cmp_nlt_f32_e32 vcc_lo, 0x42b17218, v36
	v_ldexp_f32 v35, v41, v35
	v_cvt_f16_f32_e32 v36, v34
	v_cvt_f16_f32_e32 v38, v33
	v_cndmask_b32_e32 v39, 0x7f800000, v40, vcc_lo
	v_cmp_ngt_f32_e32 vcc_lo, 0xc2ce8ed0, v50
	v_pack_b32_f16 v36, v36, v38
	v_cvt_f16_f32_e32 v40, v39
	v_cndmask_b32_e32 v35, 0, v35, vcc_lo
	v_cmp_nlt_f32_e32 vcc_lo, 0x42b17218, v50
	v_fmac_f32_e32 v34, v25, v39
	ds_write_b32 v37, v36
	s_waitcnt vmcnt(0)
	ds_write_b128 v18, v[42:45]
	v_cndmask_b32_e32 v46, 0x7f800000, v35, vcc_lo
	v_mul_u32_u24_sdwa v77, v40, v21 dst_sel:DWORD dst_unused:UNUSED_PAD src0_sel:WORD_0 src1_sel:DWORD
	s_waitcnt lgkmcnt(0)
	s_barrier
	buffer_gl0_inv
	ds_read_b128 v[35:38], v1
	v_cvt_f16_f32_e32 v40, v46
	v_fmac_f32_e32 v33, v24, v46
	v_add_co_u32 v75, vcc_lo, v19, s6
	v_add_co_ci_u32_e64 v76, null, s7, v20, vcc_lo
	v_mul_u32_u24_sdwa v78, v40, v21 dst_sel:DWORD dst_unused:UNUSED_PAD src0_sel:WORD_0 src1_sel:DWORD
	ds_read_b128 v[39:42], v1 offset:16
	ds_read2_b64 v[43:46], v32 offset1:32
	ds_read2_b64 v[47:50], v32 offset0:64 offset1:96
	ds_read2_b64 v[51:54], v32 offset0:128 offset1:160
	;; [unrolled: 1-line block ×3, first 2 shown]
	ds_read_b128 v[59:62], v1 offset:32
	ds_read_b128 v[63:66], v1 offset:48
	ds_read2_b64 v[67:70], v26 offset1:32
	ds_read2_b64 v[71:74], v26 offset0:64 offset1:96
	v_pk_mul_f16 v23, v23, v77
	v_pk_mul_f16 v13, v13, v78
	s_waitcnt lgkmcnt(9)
	v_mul_u32_u24_sdwa v24, v35, v21 dst_sel:DWORD dst_unused:UNUSED_PAD src0_sel:WORD_0 src1_sel:DWORD
	v_mul_u32_u24_sdwa v79, v35, v21 dst_sel:DWORD dst_unused:UNUSED_PAD src0_sel:WORD_1 src1_sel:DWORD
	v_mul_u32_u24_sdwa v80, v36, v21 dst_sel:DWORD dst_unused:UNUSED_PAD src0_sel:WORD_0 src1_sel:DWORD
	v_mul_u32_u24_sdwa v81, v36, v21 dst_sel:DWORD dst_unused:UNUSED_PAD src0_sel:WORD_1 src1_sel:DWORD
	v_mul_u32_u24_sdwa v82, v37, v21 dst_sel:DWORD dst_unused:UNUSED_PAD src0_sel:WORD_0 src1_sel:DWORD
	s_waitcnt lgkmcnt(7)
	v_pk_mul_f16 v25, v43, v24
	v_mul_u32_u24_sdwa v83, v37, v21 dst_sel:DWORD dst_unused:UNUSED_PAD src0_sel:WORD_1 src1_sel:DWORD
	v_mul_u32_u24_sdwa v84, v38, v21 dst_sel:DWORD dst_unused:UNUSED_PAD src0_sel:WORD_0 src1_sel:DWORD
	v_mul_u32_u24_sdwa v86, v39, v21 dst_sel:DWORD dst_unused:UNUSED_PAD src0_sel:WORD_0 src1_sel:DWORD
	v_mul_u32_u24_sdwa v87, v39, v21 dst_sel:DWORD dst_unused:UNUSED_PAD src0_sel:WORD_1 src1_sel:DWORD
	v_pk_mul_f16 v39, v43, v79
	v_mul_u32_u24_sdwa v85, v38, v21 dst_sel:DWORD dst_unused:UNUSED_PAD src0_sel:WORD_1 src1_sel:DWORD
	v_mul_u32_u24_sdwa v88, v40, v21 dst_sel:DWORD dst_unused:UNUSED_PAD src0_sel:WORD_0 src1_sel:DWORD
	v_mul_u32_u24_sdwa v89, v40, v21 dst_sel:DWORD dst_unused:UNUSED_PAD src0_sel:WORD_1 src1_sel:DWORD
	v_mul_u32_u24_sdwa v90, v41, v21 dst_sel:DWORD dst_unused:UNUSED_PAD src0_sel:WORD_0 src1_sel:DWORD
	;; [unrolled: 2-line block ×3, first 2 shown]
	v_mul_u32_u24_sdwa v93, v42, v21 dst_sel:DWORD dst_unused:UNUSED_PAD src0_sel:WORD_1 src1_sel:DWORD
	ds_read2_b64 v[35:38], v26 offset0:128 offset1:160
	v_pk_fma_f16 v43, v44, v24, v23
	v_pk_fma_f16 v77, v22, v77, v25
	ds_read2_b64 v[22:25], v26 offset0:192 offset1:224
	s_waitcnt lgkmcnt(0)
	s_barrier
	buffer_gl0_inv
	v_pk_fma_f16 v12, v12, v78, v39
	global_load_dwordx4 v[39:42], v[75:76], off
	v_pk_fma_f16 v13, v44, v79, v13
	v_pk_fma_f16 v43, v46, v80, v43
	;; [unrolled: 1-line block ×4, first 2 shown]
	v_mul_u32_u24_sdwa v44, v59, v21 dst_sel:DWORD dst_unused:UNUSED_PAD src0_sel:WORD_0 src1_sel:DWORD
	v_pk_fma_f16 v13, v46, v81, v13
	v_pk_fma_f16 v43, v48, v82, v43
	v_mul_u32_u24_sdwa v59, v59, v21 dst_sel:DWORD dst_unused:UNUSED_PAD src0_sel:WORD_1 src1_sel:DWORD
	v_pk_fma_f16 v12, v47, v83, v12
	v_mul_u32_u24_sdwa v45, v60, v21 dst_sel:DWORD dst_unused:UNUSED_PAD src0_sel:WORD_0 src1_sel:DWORD
	v_pk_fma_f16 v13, v48, v83, v13
	v_pk_fma_f16 v48, v47, v82, v75
	v_pk_fma_f16 v43, v50, v84, v43
	v_pk_fma_f16 v12, v49, v85, v12
	v_mul_u32_u24_sdwa v46, v60, v21 dst_sel:DWORD dst_unused:UNUSED_PAD src0_sel:WORD_1 src1_sel:DWORD
	v_pk_fma_f16 v13, v50, v85, v13
	v_pk_fma_f16 v48, v49, v84, v48
	v_pk_fma_f16 v43, v52, v86, v43
	v_pk_fma_f16 v12, v51, v87, v12
	v_mul_u32_u24_sdwa v47, v61, v21 dst_sel:DWORD dst_unused:UNUSED_PAD src0_sel:WORD_0 src1_sel:DWORD
	v_pk_fma_f16 v13, v52, v87, v13
	v_pk_fma_f16 v48, v51, v86, v48
	v_pk_fma_f16 v43, v54, v88, v43
	v_pk_fma_f16 v12, v53, v89, v12
	v_mul_u32_u24_sdwa v49, v61, v21 dst_sel:DWORD dst_unused:UNUSED_PAD src0_sel:WORD_1 src1_sel:DWORD
	v_pk_fma_f16 v13, v54, v89, v13
	v_pk_fma_f16 v48, v53, v88, v48
	v_pk_fma_f16 v43, v56, v90, v43
	;; [unrolled: 10-line block ×4, first 2 shown]
	v_pk_fma_f16 v12, v71, v49, v12
	v_mul_u32_u24_sdwa v48, v64, v21 dst_sel:DWORD dst_unused:UNUSED_PAD src0_sel:WORD_0 src1_sel:DWORD
	v_pk_fma_f16 v13, v72, v49, v13
	v_pk_fma_f16 v44, v71, v47, v44
	;; [unrolled: 1-line block ×3, first 2 shown]
	v_mul_u32_u24_sdwa v45, v64, v21 dst_sel:DWORD dst_unused:UNUSED_PAD src0_sel:WORD_1 src1_sel:DWORD
	v_pk_fma_f16 v12, v73, v51, v12
	v_pk_fma_f16 v13, v74, v51, v13
	;; [unrolled: 1-line block ×4, first 2 shown]
	v_mul_u32_u24_sdwa v46, v65, v21 dst_sel:DWORD dst_unused:UNUSED_PAD src0_sel:WORD_0 src1_sel:DWORD
	v_mul_u32_u24_sdwa v47, v65, v21 dst_sel:DWORD dst_unused:UNUSED_PAD src0_sel:WORD_1 src1_sel:DWORD
	v_pk_fma_f16 v13, v36, v53, v13
	v_pk_fma_f16 v36, v35, v52, v44
	;; [unrolled: 1-line block ×4, first 2 shown]
	v_mul_u32_u24_sdwa v44, v66, v21 dst_sel:DWORD dst_unused:UNUSED_PAD src0_sel:WORD_0 src1_sel:DWORD
	v_pk_fma_f16 v13, v38, v45, v13
	v_pk_fma_f16 v36, v37, v48, v36
	;; [unrolled: 1-line block ×4, first 2 shown]
	v_mul_u32_u24_sdwa v43, v66, v21 dst_sel:DWORD dst_unused:UNUSED_PAD src0_sel:WORD_1 src1_sel:DWORD
	v_pk_fma_f16 v13, v23, v47, v13
	v_pk_fma_f16 v23, v22, v46, v36
	;; [unrolled: 1-line block ×7, first 2 shown]
	s_waitcnt vmcnt(0)
	ds_write_b128 v18, v[39:42]
	s_waitcnt lgkmcnt(0)
	s_barrier
	buffer_gl0_inv
	ds_read_b128 v[35:38], v1 offset:64
	ds_read_b128 v[22:25], v1 offset:80
	ds_read2_b64 v[39:42], v32 offset1:32
	ds_read_b128 v[43:46], v1 offset:96
	ds_read_b128 v[47:50], v1 offset:112
	ds_read2_b64 v[51:54], v32 offset0:64 offset1:96
	ds_read2_b64 v[55:58], v32 offset0:128 offset1:160
	;; [unrolled: 1-line block ×3, first 2 shown]
	ds_read2_b64 v[63:66], v26 offset1:32
	ds_read2_b64 v[67:70], v26 offset0:64 offset1:96
	ds_read2_b64 v[71:74], v26 offset0:128 offset1:160
	;; [unrolled: 1-line block ×3, first 2 shown]
	s_waitcnt lgkmcnt(0)
	s_barrier
	buffer_gl0_inv
	s_load_dword s6, s[0:1], 0x4
	v_mul_u32_u24_sdwa v83, v22, v21 dst_sel:DWORD dst_unused:UNUSED_PAD src0_sel:WORD_0 src1_sel:DWORD
	v_mul_u32_u24_sdwa v22, v22, v21 dst_sel:DWORD dst_unused:UNUSED_PAD src0_sel:WORD_1 src1_sel:DWORD
	v_mul_u32_u24_sdwa v84, v23, v21 dst_sel:DWORD dst_unused:UNUSED_PAD src0_sel:WORD_0 src1_sel:DWORD
	v_mul_u32_u24_sdwa v23, v23, v21 dst_sel:DWORD dst_unused:UNUSED_PAD src0_sel:WORD_1 src1_sel:DWORD
	;; [unrolled: 2-line block ×4, first 2 shown]
	v_mul_u32_u24_sdwa v87, v43, v21 dst_sel:DWORD dst_unused:UNUSED_PAD src0_sel:WORD_0 src1_sel:DWORD
	v_mul_u32_u24_sdwa v26, v35, v21 dst_sel:DWORD dst_unused:UNUSED_PAD src0_sel:WORD_0 src1_sel:DWORD
	v_mul_u32_u24_sdwa v32, v35, v21 dst_sel:DWORD dst_unused:UNUSED_PAD src0_sel:WORD_1 src1_sel:DWORD
	v_mul_u32_u24_sdwa v35, v36, v21 dst_sel:DWORD dst_unused:UNUSED_PAD src0_sel:WORD_0 src1_sel:DWORD
	v_mul_u32_u24_sdwa v36, v36, v21 dst_sel:DWORD dst_unused:UNUSED_PAD src0_sel:WORD_1 src1_sel:DWORD
	v_mul_u32_u24_sdwa v81, v37, v21 dst_sel:DWORD dst_unused:UNUSED_PAD src0_sel:WORD_0 src1_sel:DWORD
	v_pk_fma_f16 v80, v39, v26, v80
	v_pk_fma_f16 v12, v39, v32, v12
	;; [unrolled: 1-line block ×4, first 2 shown]
	v_mul_u32_u24_sdwa v37, v37, v21 dst_sel:DWORD dst_unused:UNUSED_PAD src0_sel:WORD_1 src1_sel:DWORD
	v_pk_fma_f16 v39, v41, v35, v80
	v_pk_fma_f16 v12, v41, v36, v12
	;; [unrolled: 1-line block ×4, first 2 shown]
	v_mul_u32_u24_sdwa v82, v38, v21 dst_sel:DWORD dst_unused:UNUSED_PAD src0_sel:WORD_0 src1_sel:DWORD
	v_mul_u32_u24_sdwa v38, v38, v21 dst_sel:DWORD dst_unused:UNUSED_PAD src0_sel:WORD_1 src1_sel:DWORD
	v_pk_fma_f16 v36, v51, v81, v39
	v_pk_fma_f16 v12, v51, v37, v12
	v_pk_fma_f16 v26, v52, v81, v26
	v_pk_fma_f16 v13, v52, v37, v13
	v_mul_u32_u24_sdwa v43, v43, v21 dst_sel:DWORD dst_unused:UNUSED_PAD src0_sel:WORD_1 src1_sel:DWORD
	v_pk_fma_f16 v36, v53, v82, v36
	v_pk_fma_f16 v12, v53, v38, v12
	v_pk_fma_f16 v26, v54, v82, v26
	v_pk_fma_f16 v13, v54, v38, v13
	v_mul_u32_u24_sdwa v32, v44, v21 dst_sel:DWORD dst_unused:UNUSED_PAD src0_sel:WORD_0 src1_sel:DWORD
	v_pk_fma_f16 v36, v55, v83, v36
	v_pk_fma_f16 v12, v55, v22, v12
	v_pk_fma_f16 v26, v56, v83, v26
	v_pk_fma_f16 v13, v56, v22, v13
	v_mul_u32_u24_sdwa v35, v44, v21 dst_sel:DWORD dst_unused:UNUSED_PAD src0_sel:WORD_1 src1_sel:DWORD
	v_pk_fma_f16 v36, v57, v84, v36
	v_pk_fma_f16 v12, v57, v23, v12
	v_pk_fma_f16 v26, v58, v84, v26
	v_pk_fma_f16 v13, v58, v23, v13
	v_mul_u32_u24_sdwa v37, v45, v21 dst_sel:DWORD dst_unused:UNUSED_PAD src0_sel:WORD_0 src1_sel:DWORD
	;; [unrolled: 10-line block ×5, first 2 shown]
	v_mul_u32_u24_sdwa v32, v48, v21 dst_sel:DWORD dst_unused:UNUSED_PAD src0_sel:WORD_1 src1_sel:DWORD
	v_pk_fma_f16 v26, v71, v24, v35
	v_pk_fma_f16 v12, v71, v25, v12
	;; [unrolled: 1-line block ×4, first 2 shown]
	v_mul_u32_u24_sdwa v36, v49, v21 dst_sel:DWORD dst_unused:UNUSED_PAD src0_sel:WORD_0 src1_sel:DWORD
	v_mul_u32_u24_sdwa v23, v49, v21 dst_sel:DWORD dst_unused:UNUSED_PAD src0_sel:WORD_1 src1_sel:DWORD
	v_pk_fma_f16 v25, v73, v39, v26
	v_pk_fma_f16 v12, v73, v32, v12
	;; [unrolled: 1-line block ×4, first 2 shown]
	v_mul_u32_u24_sdwa v24, v50, v21 dst_sel:DWORD dst_unused:UNUSED_PAD src0_sel:WORD_0 src1_sel:DWORD
	v_mul_u32_u24_sdwa v26, v50, v21 dst_sel:DWORD dst_unused:UNUSED_PAD src0_sel:WORD_1 src1_sel:DWORD
	v_pk_fma_f16 v25, v75, v36, v25
	v_pk_fma_f16 v12, v75, v23, v12
	;; [unrolled: 1-line block ×4, first 2 shown]
	s_waitcnt lgkmcnt(0)
	s_lshl_b32 s6, s6, 5
	v_pk_fma_f16 v22, v77, v24, v25
	v_pk_fma_f16 v12, v77, v26, v12
	;; [unrolled: 1-line block ×4, first 2 shown]
	s_add_i32 s8, s6, s8
	s_cmp_ge_i32 s8, s30
	s_cbranch_scc1 .LBB20_23
; %bb.22:                               ;   in Loop: Header=BB20_13 Depth=1
	v_mov_b32_e32 v32, v4
	v_mov_b32_e32 v26, v5
	;; [unrolled: 1-line block ×4, first 2 shown]
	s_branch .LBB20_13
.LBB20_23:
	v_mov_b32_e32 v3, v8
.LBB20_24:
	v_cmp_lt_i32_e32 vcc_lo, v31, v10
	s_cmp_lg_u64 s[16:17], 0
	s_cselect_b32 s0, -1, 0
	s_cmp_eq_u32 s28, 0
	v_cndmask_b32_e32 v1, v3, v31, vcc_lo
	v_cmp_lt_i32_e32 vcc_lo, v27, v10
	s_cselect_b32 s1, -1, 0
	s_and_b32 s0, s1, s0
	v_lshlrev_b32_e32 v1, 2, v1
	v_cndmask_b32_e32 v7, v3, v27, vcc_lo
	v_cmp_lt_i32_e32 vcc_lo, v28, v10
	ds_bpermute_b32 v6, v1, v34
	ds_bpermute_b32 v1, v1, v33
	v_lshlrev_b32_e32 v7, 2, v7
	v_cndmask_b32_e32 v14, v3, v28, vcc_lo
	v_cmp_lt_i32_e32 vcc_lo, v29, v10
	v_lshlrev_b32_e32 v14, 2, v14
	s_waitcnt lgkmcnt(1)
	v_add_f32_e32 v6, v34, v6
	s_waitcnt lgkmcnt(0)
	v_add_f32_e32 v1, v33, v1
	ds_bpermute_b32 v8, v7, v6
	ds_bpermute_b32 v7, v7, v1
	s_waitcnt lgkmcnt(1)
	v_add_f32_e32 v6, v6, v8
	s_waitcnt lgkmcnt(0)
	v_add_f32_e32 v1, v1, v7
	ds_bpermute_b32 v7, v14, v6
	ds_bpermute_b32 v8, v14, v1
	v_cndmask_b32_e32 v14, v3, v29, vcc_lo
	v_cmp_lt_i32_e32 vcc_lo, v30, v10
	v_lshlrev_b32_e32 v14, 2, v14
	v_cndmask_b32_e32 v3, v3, v30, vcc_lo
	s_and_b32 vcc_lo, exec_lo, s0
	s_mov_b32 s0, 0
	v_lshlrev_b32_e32 v3, 2, v3
	s_waitcnt lgkmcnt(1)
	v_add_f32_e32 v6, v6, v7
	s_waitcnt lgkmcnt(0)
	v_add_f32_e32 v1, v1, v8
	ds_bpermute_b32 v7, v14, v6
	ds_bpermute_b32 v8, v14, v1
	s_waitcnt lgkmcnt(1)
	v_add_f32_e32 v6, v6, v7
	s_waitcnt lgkmcnt(0)
	v_add_f32_e32 v1, v1, v8
	v_add_nc_u32_e32 v8, s33, v9
	ds_bpermute_b32 v7, v3, v6
	ds_bpermute_b32 v3, v3, v1
	s_waitcnt lgkmcnt(1)
	v_add_f32_e32 v6, v6, v7
	s_waitcnt lgkmcnt(0)
	v_add_f32_e32 v7, v1, v3
	s_cbranch_vccnz .LBB20_27
; %bb.25:
	v_add_nc_u32_e32 v1, s33, v9
	v_mov_b32_e32 v10, v7
	v_mov_b32_e32 v9, v6
	s_andn2_b32 vcc_lo, exec_lo, s0
	s_cbranch_vccz .LBB20_28
; %bb.26:
	v_mov_b32_e32 v8, v1
	s_branch .LBB20_29
.LBB20_27:
                                        ; implicit-def: $vgpr1
                                        ; implicit-def: $vgpr9_vgpr10
.LBB20_28:
	v_ashrrev_i32_e32 v9, 31, v8
	v_max_f32_e32 v1, v4, v4
	v_max_f32_e32 v15, v5, v5
	v_lshlrev_b64 v[9:10], 2, v[8:9]
	v_add_co_u32 v9, vcc_lo, s16, v9
	v_add_co_ci_u32_e64 v10, null, s17, v10, vcc_lo
	global_load_dwordx2 v[9:10], v[9:10], off
	s_waitcnt vmcnt(0)
	v_max_f32_e32 v3, v9, v9
	v_max_f32_e32 v16, v10, v10
	;; [unrolled: 1-line block ×4, first 2 shown]
	v_sub_f32_e32 v1, v4, v14
	v_sub_f32_e32 v3, v9, v14
	;; [unrolled: 1-line block ×4, first 2 shown]
	v_mul_f32_e32 v9, 0x3fb8aa3b, v1
	v_mul_f32_e32 v10, 0x3fb8aa3b, v3
	;; [unrolled: 1-line block ×4, first 2 shown]
	v_cmp_ngt_f32_e32 vcc_lo, 0xc2ce8ed0, v1
	v_fma_f32 v18, 0x3fb8aa3b, v1, -v9
	v_rndne_f32_e32 v19, v9
	v_fma_f32 v24, 0x3fb8aa3b, v4, -v16
	v_rndne_f32_e32 v25, v16
	v_fma_f32 v20, 0x3fb8aa3b, v3, -v10
	v_fmac_f32_e32 v18, 0x32a5705f, v1
	v_sub_f32_e32 v9, v9, v19
	v_rndne_f32_e32 v21, v10
	v_fmac_f32_e32 v24, 0x32a5705f, v4
	v_sub_f32_e32 v16, v16, v25
	v_fmac_f32_e32 v20, 0x32a5705f, v3
	v_add_f32_e32 v9, v9, v18
	v_sub_f32_e32 v10, v10, v21
	v_cvt_i32_f32_e32 v18, v19
	v_add_f32_e32 v16, v16, v24
	v_fma_f32 v26, 0x3fb8aa3b, v5, -v17
	v_exp_f32_e32 v9, v9
	v_add_f32_e32 v10, v10, v20
	v_rndne_f32_e32 v27, v17
	v_exp_f32_e32 v16, v16
	v_cvt_i32_f32_e32 v20, v25
	v_fmac_f32_e32 v26, 0x32a5705f, v5
	v_exp_f32_e32 v10, v10
	v_sub_f32_e32 v17, v17, v27
	v_cvt_i32_f32_e32 v19, v21
	v_cvt_i32_f32_e32 v21, v27
	v_ldexp_f32 v9, v9, v18
	v_mov_b32_e32 v24, 0x10001
	v_add_f32_e32 v17, v17, v26
	v_ldexp_f32 v16, v16, v20
	v_cndmask_b32_e32 v9, 0, v9, vcc_lo
	v_cmp_ngt_f32_e32 vcc_lo, 0xc2ce8ed0, v4
	v_ldexp_f32 v10, v10, v19
	v_exp_f32_e32 v17, v17
	v_cndmask_b32_e32 v16, 0, v16, vcc_lo
	v_cmp_ngt_f32_e32 vcc_lo, 0xc2ce8ed0, v3
	v_cndmask_b32_e32 v10, 0, v10, vcc_lo
	v_cmp_nlt_f32_e32 vcc_lo, 0x42b17218, v1
	v_ldexp_f32 v17, v17, v21
	v_cndmask_b32_e32 v1, 0x7f800000, v9, vcc_lo
	v_cmp_nlt_f32_e32 vcc_lo, 0x42b17218, v4
	v_cndmask_b32_e32 v16, 0x7f800000, v16, vcc_lo
	v_cmp_ngt_f32_e32 vcc_lo, 0xc2ce8ed0, v5
	v_cndmask_b32_e32 v4, 0, v17, vcc_lo
	v_cmp_nlt_f32_e32 vcc_lo, 0x42b17218, v3
	v_cvt_f16_f32_e32 v3, v1
	v_cvt_f16_f32_e32 v17, v16
	v_cndmask_b32_e32 v9, 0x7f800000, v10, vcc_lo
	v_cmp_nlt_f32_e32 vcc_lo, 0x42b17218, v5
	v_fmac_f32_e32 v9, v6, v1
	v_cndmask_b32_e32 v10, 0x7f800000, v4, vcc_lo
	v_mul_u32_u24_sdwa v1, v3, v24 dst_sel:DWORD dst_unused:UNUSED_PAD src0_sel:WORD_0 src1_sel:DWORD
	v_mul_u32_u24_sdwa v3, v17, v24 dst_sel:DWORD dst_unused:UNUSED_PAD src0_sel:WORD_0 src1_sel:DWORD
	v_mov_b32_e32 v4, v14
	v_mov_b32_e32 v5, v15
	v_fmac_f32_e32 v10, v7, v16
	v_mov_b32_e32 v6, v9
	v_pk_mul_f16 v22, v22, v1
	v_pk_mul_f16 v23, v23, v1
	;; [unrolled: 1-line block ×4, first 2 shown]
	v_mov_b32_e32 v7, v10
.LBB20_29:
	s_load_dword s1, s[4:5], 0xd4
	v_mov_b32_e32 v3, 1.0
	s_waitcnt lgkmcnt(0)
	s_cmp_lg_u32 s1, 1
	s_cselect_b32 s5, -1, 0
	s_cmp_eq_u32 s1, 1
	s_cselect_b32 s4, -1, 0
	s_and_b32 vcc_lo, exec_lo, s5
	s_cbranch_vccnz .LBB20_31
; %bb.30:
	v_div_scale_f32 v1, null, v6, v6, 1.0
	v_rcp_f32_e32 v3, v1
	v_fma_f32 v14, -v1, v3, 1.0
	v_fmac_f32_e32 v3, v14, v3
	v_div_scale_f32 v14, vcc_lo, 1.0, v6, 1.0
	v_mul_f32_e32 v15, v14, v3
	v_fma_f32 v16, -v1, v15, v14
	v_fmac_f32_e32 v15, v16, v3
	v_fma_f32 v1, -v1, v15, v14
	v_div_fmas_f32 v1, v1, v3, v15
	v_div_fixup_f32 v3, v1, v6, 1.0
.LBB20_31:
	v_mad_u64_u32 v[1:2], null, s29, s2, v[2:3]
	v_mov_b32_e32 v15, 0
	v_cmp_eq_u32_e32 vcc_lo, 0, v0
	v_cvt_f32_f16_e32 v0, v22
	v_cvt_f32_f16_e32 v6, v23
	v_mad_u64_u32 v[1:2], null, v1, s3, v[8:9]
	v_cvt_f32_f16_sdwa v8, v23 dst_sel:DWORD dst_unused:UNUSED_PAD src0_sel:WORD_1
	v_mul_f32_e32 v16, v3, v6
	v_mul_f32_e32 v17, v3, v8
	v_mad_u64_u32 v[1:2], null, s1, v1, s[28:29]
	v_cvt_f32_f16_sdwa v2, v22 dst_sel:DWORD dst_unused:UNUSED_PAD src0_sel:WORD_1
	v_lshl_add_u32 v14, v1, 7, v11
	v_lshlrev_b64 v[18:19], 2, v[14:15]
	v_mul_f32_e32 v15, v3, v2
	v_mul_f32_e32 v14, v3, v0
	v_add_co_u32 v2, s0, s20, v18
	v_add_co_ci_u32_e64 v3, null, s21, v19, s0
	s_and_b32 s0, vcc_lo, s5
	global_store_dwordx4 v[2:3], v[14:17], off
	s_and_saveexec_b32 s2, s0
	s_cbranch_execz .LBB20_33
; %bb.32:
	v_ashrrev_i32_e32 v2, 31, v1
	v_mov_b32_e32 v8, v4
	v_lshlrev_b64 v[2:3], 3, v[1:2]
	v_add_co_u32 v2, vcc_lo, s22, v2
	v_add_co_ci_u32_e64 v3, null, s23, v3, vcc_lo
	global_store_dwordx2 v[2:3], v[8:9], off
.LBB20_33:
	s_or_b32 exec_lo, exec_lo, s2
	v_mov_b32_e32 v2, 1.0
	s_andn2_b32 vcc_lo, exec_lo, s4
	s_cbranch_vccnz .LBB20_35
; %bb.34:
	v_div_scale_f32 v0, null, v7, v7, 1.0
	v_rcp_f32_e32 v2, v0
	v_fma_f32 v3, -v0, v2, 1.0
	v_fmac_f32_e32 v2, v3, v2
	v_div_scale_f32 v3, vcc_lo, 1.0, v7, 1.0
	v_mul_f32_e32 v4, v3, v2
	v_fma_f32 v6, -v0, v4, v3
	v_fmac_f32_e32 v4, v6, v2
	v_fma_f32 v0, -v0, v4, v3
	v_div_fmas_f32 v0, v0, v2, v4
	v_div_fixup_f32 v2, v0, v7, 1.0
.LBB20_35:
	v_add_nc_u32_e32 v0, s1, v1
	v_mov_b32_e32 v4, 0
	v_cvt_f32_f16_e32 v1, v12
	v_cvt_f32_f16_sdwa v7, v12 dst_sel:DWORD dst_unused:UNUSED_PAD src0_sel:WORD_1
	v_cvt_f32_f16_e32 v8, v13
	v_lshl_add_u32 v3, v0, 7, v11
	v_cvt_f32_f16_sdwa v9, v13 dst_sel:DWORD dst_unused:UNUSED_PAD src0_sel:WORD_1
	v_mul_f32_e32 v6, v2, v1
	v_mul_f32_e32 v7, v2, v7
	;; [unrolled: 1-line block ×3, first 2 shown]
	v_lshlrev_b64 v[3:4], 2, v[3:4]
	v_mul_f32_e32 v9, v2, v9
	v_add_co_u32 v1, vcc_lo, s20, v3
	v_add_co_ci_u32_e64 v2, null, s21, v4, vcc_lo
	global_store_dwordx4 v[1:2], v[6:9], off
	s_and_saveexec_b32 s1, s0
	s_cbranch_execz .LBB20_37
; %bb.36:
	v_ashrrev_i32_e32 v1, 31, v0
	v_mov_b32_e32 v9, v5
	v_lshlrev_b64 v[0:1], 3, v[0:1]
	v_add_co_u32 v0, vcc_lo, s22, v0
	v_add_co_ci_u32_e64 v1, null, s23, v1, vcc_lo
	global_store_dwordx2 v[0:1], v[9:10], off
.LBB20_37:
	s_endpgm
	.section	.rodata,"a",@progbits
	.p2align	6, 0x0
	.amdhsa_kernel _ZL15flash_attn_tileILi192ELi128ELi1ELi16ELb1EEvPKcS1_S1_S1_S1_PKiPfP15HIP_vector_typeIfLj2EEffffjfiS5_IjLj3EEiiiiiiiiiiiliiliiiiil
		.amdhsa_group_segment_fixed_size 11776
		.amdhsa_private_segment_fixed_size 0
		.amdhsa_kernarg_size 464
		.amdhsa_user_sgpr_count 6
		.amdhsa_user_sgpr_private_segment_buffer 1
		.amdhsa_user_sgpr_dispatch_ptr 0
		.amdhsa_user_sgpr_queue_ptr 0
		.amdhsa_user_sgpr_kernarg_segment_ptr 1
		.amdhsa_user_sgpr_dispatch_id 0
		.amdhsa_user_sgpr_flat_scratch_init 0
		.amdhsa_user_sgpr_private_segment_size 0
		.amdhsa_wavefront_size32 1
		.amdhsa_uses_dynamic_stack 0
		.amdhsa_system_sgpr_private_segment_wavefront_offset 0
		.amdhsa_system_sgpr_workgroup_id_x 1
		.amdhsa_system_sgpr_workgroup_id_y 1
		.amdhsa_system_sgpr_workgroup_id_z 1
		.amdhsa_system_sgpr_workgroup_info 0
		.amdhsa_system_vgpr_workitem_id 1
		.amdhsa_next_free_vgpr 94
		.amdhsa_next_free_sgpr 40
		.amdhsa_reserve_vcc 1
		.amdhsa_reserve_flat_scratch 0
		.amdhsa_float_round_mode_32 0
		.amdhsa_float_round_mode_16_64 0
		.amdhsa_float_denorm_mode_32 3
		.amdhsa_float_denorm_mode_16_64 3
		.amdhsa_dx10_clamp 1
		.amdhsa_ieee_mode 1
		.amdhsa_fp16_overflow 0
		.amdhsa_workgroup_processor_mode 1
		.amdhsa_memory_ordered 1
		.amdhsa_forward_progress 1
		.amdhsa_shared_vgpr_count 0
		.amdhsa_exception_fp_ieee_invalid_op 0
		.amdhsa_exception_fp_denorm_src 0
		.amdhsa_exception_fp_ieee_div_zero 0
		.amdhsa_exception_fp_ieee_overflow 0
		.amdhsa_exception_fp_ieee_underflow 0
		.amdhsa_exception_fp_ieee_inexact 0
		.amdhsa_exception_int_div_zero 0
	.end_amdhsa_kernel
	.section	.text._ZL15flash_attn_tileILi192ELi128ELi1ELi16ELb1EEvPKcS1_S1_S1_S1_PKiPfP15HIP_vector_typeIfLj2EEffffjfiS5_IjLj3EEiiiiiiiiiiiliiliiiiil,"axG",@progbits,_ZL15flash_attn_tileILi192ELi128ELi1ELi16ELb1EEvPKcS1_S1_S1_S1_PKiPfP15HIP_vector_typeIfLj2EEffffjfiS5_IjLj3EEiiiiiiiiiiiliiliiiiil,comdat
.Lfunc_end20:
	.size	_ZL15flash_attn_tileILi192ELi128ELi1ELi16ELb1EEvPKcS1_S1_S1_S1_PKiPfP15HIP_vector_typeIfLj2EEffffjfiS5_IjLj3EEiiiiiiiiiiiliiliiiiil, .Lfunc_end20-_ZL15flash_attn_tileILi192ELi128ELi1ELi16ELb1EEvPKcS1_S1_S1_S1_PKiPfP15HIP_vector_typeIfLj2EEffffjfiS5_IjLj3EEiiiiiiiiiiiliiliiiiil
                                        ; -- End function
	.set _ZL15flash_attn_tileILi192ELi128ELi1ELi16ELb1EEvPKcS1_S1_S1_S1_PKiPfP15HIP_vector_typeIfLj2EEffffjfiS5_IjLj3EEiiiiiiiiiiiliiliiiiil.num_vgpr, 94
	.set _ZL15flash_attn_tileILi192ELi128ELi1ELi16ELb1EEvPKcS1_S1_S1_S1_PKiPfP15HIP_vector_typeIfLj2EEffffjfiS5_IjLj3EEiiiiiiiiiiiliiliiiiil.num_agpr, 0
	.set _ZL15flash_attn_tileILi192ELi128ELi1ELi16ELb1EEvPKcS1_S1_S1_S1_PKiPfP15HIP_vector_typeIfLj2EEffffjfiS5_IjLj3EEiiiiiiiiiiiliiliiiiil.numbered_sgpr, 40
	.set _ZL15flash_attn_tileILi192ELi128ELi1ELi16ELb1EEvPKcS1_S1_S1_S1_PKiPfP15HIP_vector_typeIfLj2EEffffjfiS5_IjLj3EEiiiiiiiiiiiliiliiiiil.num_named_barrier, 0
	.set _ZL15flash_attn_tileILi192ELi128ELi1ELi16ELb1EEvPKcS1_S1_S1_S1_PKiPfP15HIP_vector_typeIfLj2EEffffjfiS5_IjLj3EEiiiiiiiiiiiliiliiiiil.private_seg_size, 0
	.set _ZL15flash_attn_tileILi192ELi128ELi1ELi16ELb1EEvPKcS1_S1_S1_S1_PKiPfP15HIP_vector_typeIfLj2EEffffjfiS5_IjLj3EEiiiiiiiiiiiliiliiiiil.uses_vcc, 1
	.set _ZL15flash_attn_tileILi192ELi128ELi1ELi16ELb1EEvPKcS1_S1_S1_S1_PKiPfP15HIP_vector_typeIfLj2EEffffjfiS5_IjLj3EEiiiiiiiiiiiliiliiiiil.uses_flat_scratch, 0
	.set _ZL15flash_attn_tileILi192ELi128ELi1ELi16ELb1EEvPKcS1_S1_S1_S1_PKiPfP15HIP_vector_typeIfLj2EEffffjfiS5_IjLj3EEiiiiiiiiiiiliiliiiiil.has_dyn_sized_stack, 0
	.set _ZL15flash_attn_tileILi192ELi128ELi1ELi16ELb1EEvPKcS1_S1_S1_S1_PKiPfP15HIP_vector_typeIfLj2EEffffjfiS5_IjLj3EEiiiiiiiiiiiliiliiiiil.has_recursion, 0
	.set _ZL15flash_attn_tileILi192ELi128ELi1ELi16ELb1EEvPKcS1_S1_S1_S1_PKiPfP15HIP_vector_typeIfLj2EEffffjfiS5_IjLj3EEiiiiiiiiiiiliiliiiiil.has_indirect_call, 0
	.section	.AMDGPU.csdata,"",@progbits
; Kernel info:
; codeLenInByte = 11184
; TotalNumSgprs: 42
; NumVgprs: 94
; ScratchSize: 0
; MemoryBound: 0
; FloatMode: 240
; IeeeMode: 1
; LDSByteSize: 11776 bytes/workgroup (compile time only)
; SGPRBlocks: 0
; VGPRBlocks: 11
; NumSGPRsForWavesPerEU: 42
; NumVGPRsForWavesPerEU: 94
; Occupancy: 10
; WaveLimiterHint : 1
; COMPUTE_PGM_RSRC2:SCRATCH_EN: 0
; COMPUTE_PGM_RSRC2:USER_SGPR: 6
; COMPUTE_PGM_RSRC2:TRAP_HANDLER: 0
; COMPUTE_PGM_RSRC2:TGID_X_EN: 1
; COMPUTE_PGM_RSRC2:TGID_Y_EN: 1
; COMPUTE_PGM_RSRC2:TGID_Z_EN: 1
; COMPUTE_PGM_RSRC2:TIDIG_COMP_CNT: 1
	.section	.text._ZL15flash_attn_tileILi192ELi128ELi4ELi8ELb1EEvPKcS1_S1_S1_S1_PKiPfP15HIP_vector_typeIfLj2EEffffjfiS5_IjLj3EEiiiiiiiiiiiliiliiiiil,"axG",@progbits,_ZL15flash_attn_tileILi192ELi128ELi4ELi8ELb1EEvPKcS1_S1_S1_S1_PKiPfP15HIP_vector_typeIfLj2EEffffjfiS5_IjLj3EEiiiiiiiiiiiliiliiiiil,comdat
	.globl	_ZL15flash_attn_tileILi192ELi128ELi4ELi8ELb1EEvPKcS1_S1_S1_S1_PKiPfP15HIP_vector_typeIfLj2EEffffjfiS5_IjLj3EEiiiiiiiiiiiliiliiiiil ; -- Begin function _ZL15flash_attn_tileILi192ELi128ELi4ELi8ELb1EEvPKcS1_S1_S1_S1_PKiPfP15HIP_vector_typeIfLj2EEffffjfiS5_IjLj3EEiiiiiiiiiiiliiliiiiil
	.p2align	8
	.type	_ZL15flash_attn_tileILi192ELi128ELi4ELi8ELb1EEvPKcS1_S1_S1_S1_PKiPfP15HIP_vector_typeIfLj2EEffffjfiS5_IjLj3EEiiiiiiiiiiiliiliiiiil,@function
_ZL15flash_attn_tileILi192ELi128ELi4ELi8ELb1EEvPKcS1_S1_S1_S1_PKiPfP15HIP_vector_typeIfLj2EEffffjfiS5_IjLj3EEiiiiiiiiiiiliiliiiiil: ; @_ZL15flash_attn_tileILi192ELi128ELi4ELi8ELb1EEvPKcS1_S1_S1_S1_PKiPfP15HIP_vector_typeIfLj2EEffffjfiS5_IjLj3EEiiiiiiiiiiiliiliiiiil
; %bb.0:
	s_clause 0x1
	s_load_dwordx4 s[0:3], s[4:5], 0x5c
	s_load_dwordx2 s[30:31], s[4:5], 0x80
	s_mov_b32 s28, s7
	s_mov_b64 s[34:35], 0
	s_waitcnt lgkmcnt(0)
	s_ashr_i32 s7, s3, 31
	s_lshr_b32 s7, s7, 29
	s_add_i32 s7, s3, s7
	s_ashr_i32 s7, s7, 3
	v_cvt_f32_u32_e32 v2, s7
	s_sub_i32 s10, 0, s7
	v_rcp_iflag_f32_e32 v2, v2
	v_mul_f32_e32 v2, 0x4f7ffffe, v2
	v_cvt_u32_f32_e32 v2, v2
	v_readfirstlane_b32 s9, v2
	s_mul_i32 s10, s10, s9
	s_mul_hi_u32 s10, s9, s10
	s_add_i32 s9, s9, s10
	s_mul_hi_u32 s9, s8, s9
	s_mul_i32 s10, s9, s7
	s_add_i32 s11, s9, 1
	s_sub_i32 s10, s8, s10
	s_sub_i32 s12, s10, s7
	s_cmp_ge_u32 s10, s7
	s_cselect_b32 s9, s11, s9
	s_cselect_b32 s10, s12, s10
	s_add_i32 s11, s9, 1
	s_cmp_ge_u32 s10, s7
	s_cselect_b32 s7, s11, s9
	s_abs_i32 s9, s31
	s_lshl_b32 s8, s8, 3
	v_cvt_f32_u32_e32 v2, s9
	s_sub_i32 s11, 0, s9
	s_mul_i32 s12, s7, s3
	s_abs_i32 s13, s3
	s_sub_i32 s29, s8, s12
	v_rcp_iflag_f32_e32 v2, v2
	v_mul_f32_e32 v2, 0x4f7ffffe, v2
	v_cvt_u32_f32_e32 v2, v2
	v_readfirstlane_b32 s10, v2
	s_mul_i32 s11, s11, s10
	s_mul_hi_u32 s11, s10, s11
	s_add_i32 s10, s10, s11
	s_mul_hi_u32 s8, s13, s10
	s_xor_b32 s10, s3, s31
	s_mul_i32 s11, s8, s9
	s_ashr_i32 s10, s10, 31
	s_sub_i32 s11, s13, s11
	s_add_i32 s12, s8, 1
	s_sub_i32 s13, s11, s9
	s_cmp_ge_u32 s11, s9
	s_cselect_b32 s8, s12, s8
	s_cselect_b32 s11, s13, s11
	s_add_i32 s12, s8, 1
	s_cmp_ge_u32 s11, s9
	s_cselect_b32 s8, s12, s8
	s_xor_b32 s8, s8, s10
	s_sub_i32 s33, s8, s10
	s_clause 0x1
	s_load_dwordx16 s[8:23], s[4:5], 0x0
	s_load_dwordx2 s[36:37], s[4:5], 0xb8
	s_abs_i32 s31, s33
	v_cvt_f32_u32_e32 v2, s31
	v_rcp_iflag_f32_e32 v2, v2
	v_mul_f32_e32 v2, 0x4f7ffffe, v2
	s_waitcnt lgkmcnt(0)
	s_cmp_eq_u64 s[14:15], 0
	v_cvt_u32_f32_e32 v2, v2
	v_readfirstlane_b32 s38, v2
	s_cbranch_scc1 .LBB21_2
; %bb.1:
	s_abs_i32 s26, s36
	s_abs_i32 s27, s7
	v_cvt_f32_u32_e32 v2, s26
	s_sub_i32 s25, 0, s26
	v_rcp_iflag_f32_e32 v2, v2
	v_mul_f32_e32 v2, 0x4f7ffffe, v2
	v_cvt_u32_f32_e32 v2, v2
	v_readfirstlane_b32 s24, v2
	s_mul_i32 s25, s25, s24
	s_mul_hi_u32 s25, s24, s25
	s_add_i32 s24, s24, s25
	s_mul_hi_u32 s34, s27, s24
	s_load_dwordx2 s[24:25], s[4:5], 0xc8
	s_mul_i32 s34, s34, s26
	s_sub_i32 s27, s27, s34
	s_ashr_i32 s34, s7, 31
	s_sub_i32 s35, s27, s26
	s_cmp_ge_u32 s27, s26
	s_cselect_b32 s27, s35, s27
	s_sub_i32 s35, s27, s26
	s_cmp_ge_u32 s27, s26
	s_cselect_b32 s26, s35, s27
	s_xor_b32 s26, s26, s34
	s_sub_i32 s26, s26, s34
	s_ashr_i32 s27, s26, 31
	s_waitcnt lgkmcnt(0)
	s_mul_hi_u32 s34, s24, s26
	s_mul_i32 s27, s24, s27
	s_mul_i32 s25, s25, s26
	s_add_i32 s27, s34, s27
	s_mul_i32 s24, s24, s26
	s_add_i32 s27, s27, s25
	s_add_u32 s34, s14, s24
	s_addc_u32 s35, s15, s27
.LBB21_2:
	v_lshrrev_b32_e32 v2, 1, v1
	s_load_dwordx4 s[24:27], s[4:5], 0x70
	v_lshlrev_b32_e32 v5, 2, v1
	v_lshlrev_b32_e32 v9, 4, v0
	;; [unrolled: 1-line block ×3, first 2 shown]
	v_lshl_add_u32 v13, s6, 2, v2
	v_mul_u32_u24_e32 v26, 0x600, v1
	v_and_b32_e32 v23, 4, v5
	v_mad_u32_u24 v12, 0x600, v1, v25
	v_mul_hi_u32 v2, s0, v13
	v_add_nc_u32_e32 v2, v13, v2
	s_waitcnt lgkmcnt(0)
	s_mul_i32 s14, s29, s25
	s_mov_b32 s0, s25
	v_lshrrev_b32_e32 v2, s1, v2
	s_mul_i32 s1, s7, s26
	s_ashr_i32 s15, s1, 31
	s_add_u32 s1, s8, s1
	v_mul_lo_u32 v2, v2, s2
	s_addc_u32 s8, s9, s15
	s_ashr_i32 s9, s14, 31
	s_add_u32 s14, s1, s14
	s_addc_u32 s15, s8, s9
	s_ashr_i32 s1, s25, 31
	s_ashr_i32 s25, s24, 31
	v_mul_i32_i24_e32 v8, s1, v23
	v_sub_nc_u32_e32 v4, v13, v2
	s_lshr_b64 s[8:9], s[24:25], 2
	v_mad_u64_u32 v[2:3], null, s8, v4, 0
	s_lshr_b32 s8, s25, 2
	v_mad_u64_u32 v[6:7], null, s8, v4, v[3:4]
	s_lshr_b64 s[8:9], s[0:1], 2
	s_load_dword s1, s[4:5], 0x40
	v_mov_b32_e32 v3, v6
	v_mad_u64_u32 v[6:7], null, s8, v23, 0
	v_lshlrev_b64 v[2:3], 2, v[2:3]
	v_or_b32_e32 v7, v7, v8
	v_add_co_u32 v8, vcc_lo, s14, v2
	v_add_co_ci_u32_e64 v10, null, s15, v3, vcc_lo
	v_lshlrev_b64 v[2:3], 2, v[6:7]
	v_add_co_u32 v6, vcc_lo, v8, v9
	v_add_co_ci_u32_e64 v7, null, 0, v10, vcc_lo
	v_add_co_u32 v2, vcc_lo, v6, v2
	v_add_co_ci_u32_e64 v3, null, v7, v3, vcc_lo
	v_cmp_gt_u32_e32 vcc_lo, 16, v0
	global_load_dwordx4 v[8:11], v[2:3], off
	s_waitcnt vmcnt(0) lgkmcnt(0)
	v_fma_mixlo_f16 v9, s1, v9, 0
	v_fma_mixlo_f16 v8, s1, v8, 0
	;; [unrolled: 1-line block ×4, first 2 shown]
	v_lshlrev_b32_e32 v9, 16, v9
	v_and_b32_e32 v8, 0xffff, v8
	v_and_b32_e32 v10, 0xffff, v10
	v_lshlrev_b32_e32 v11, 16, v11
	v_or_b32_e32 v8, v9, v8
	v_or3_b32 v9, v11, v10, 0
	v_or3_b32 v8, 0, 0, v8
	ds_write_b64 v12, v[8:9]
	s_and_saveexec_b32 s0, vcc_lo
	s_cbranch_execz .LBB21_4
; %bb.3:
	global_load_dwordx4 v[8:11], v[2:3], off offset:512
	s_waitcnt vmcnt(0)
	v_fma_mixlo_f16 v2, s1, v9, 0
	v_fma_mixlo_f16 v3, s1, v8, 0
	;; [unrolled: 1-line block ×4, first 2 shown]
	v_lshlrev_b32_e32 v2, 16, v2
	v_and_b32_e32 v3, 0xffff, v3
	v_and_b32_e32 v8, 0xffff, v8
	v_lshlrev_b32_e32 v9, 16, v9
	v_or_b32_e32 v2, v2, v3
	v_or3_b32 v3, v9, v8, 0
	v_add_nc_u32_e32 v8, v25, v26
	v_or3_b32 v2, 0, 0, v2
	ds_write_b64 v8, v[2:3] offset:256
.LBB21_4:
	s_or_b32 exec_lo, exec_lo, s0
	v_or_b32_e32 v12, 1, v5
	v_and_b32_e32 v8, 5, v12
	v_mul_u32_u24_e32 v14, 0x180, v12
	v_mad_u32_u24 v12, 0x180, v12, v25
	v_mad_u64_u32 v[2:3], null, s8, v8, 0
	v_mad_u64_u32 v[8:9], null, s9, v8, v[3:4]
	v_mov_b32_e32 v3, v8
	v_lshlrev_b64 v[2:3], 2, v[2:3]
	v_add_co_u32 v2, s0, v6, v2
	v_add_co_ci_u32_e64 v3, null, v7, v3, s0
	global_load_dwordx4 v[8:11], v[2:3], off
	s_waitcnt vmcnt(0)
	v_fma_mixlo_f16 v9, s1, v9, 0
	v_fma_mixlo_f16 v8, s1, v8, 0
	;; [unrolled: 1-line block ×4, first 2 shown]
	v_lshlrev_b32_e32 v9, 16, v9
	v_and_b32_e32 v8, 0xffff, v8
	v_and_b32_e32 v10, 0xffff, v10
	v_lshlrev_b32_e32 v11, 16, v11
	v_or_b32_e32 v8, v9, v8
	v_or3_b32 v10, v11, v10, 0
	v_or3_b32 v9, 0, 0, v8
	v_add_nc_u32_e32 v8, v25, v14
	ds_write_b64 v12, v[9:10]
	s_and_saveexec_b32 s0, vcc_lo
	s_cbranch_execz .LBB21_6
; %bb.5:
	global_load_dwordx4 v[9:12], v[2:3], off offset:512
	s_waitcnt vmcnt(0)
	v_fma_mixlo_f16 v2, s1, v10, 0
	v_fma_mixlo_f16 v3, s1, v9, 0
	v_fma_mixlo_f16 v9, s1, v11, 0
	v_fma_mixlo_f16 v10, s1, v12, 0
	v_lshlrev_b32_e32 v2, 16, v2
	v_and_b32_e32 v3, 0xffff, v3
	v_and_b32_e32 v9, 0xffff, v9
	v_lshlrev_b32_e32 v10, 16, v10
	v_or_b32_e32 v2, v2, v3
	v_or3_b32 v3, v10, v9, 0
	v_or3_b32 v2, 0, 0, v2
	ds_write_b64 v8, v[2:3] offset:256
.LBB21_6:
	s_or_b32 exec_lo, exec_lo, s0
	v_or_b32_e32 v2, 2, v5
	v_and_b32_e32 v9, 6, v2
	v_mad_u64_u32 v[2:3], null, s8, v9, 0
	v_mad_u64_u32 v[9:10], null, s9, v9, v[3:4]
	v_mov_b32_e32 v3, v9
	v_lshlrev_b64 v[2:3], 2, v[2:3]
	v_add_co_u32 v2, s0, v6, v2
	v_add_co_ci_u32_e64 v3, null, v7, v3, s0
	global_load_dwordx4 v[9:12], v[2:3], off
	s_waitcnt vmcnt(0)
	v_fma_mixlo_f16 v10, s1, v10, 0
	v_fma_mixlo_f16 v9, s1, v9, 0
	;; [unrolled: 1-line block ×4, first 2 shown]
	v_lshlrev_b32_e32 v10, 16, v10
	v_and_b32_e32 v9, 0xffff, v9
	v_and_b32_e32 v11, 0xffff, v11
	v_lshlrev_b32_e32 v12, 16, v12
	v_or_b32_e32 v9, v10, v9
	v_or3_b32 v10, v12, v11, 0
	v_or3_b32 v9, 0, 0, v9
	ds_write_b64 v8, v[9:10] offset:384
	s_and_saveexec_b32 s0, vcc_lo
	s_cbranch_execz .LBB21_8
; %bb.7:
	global_load_dwordx4 v[9:12], v[2:3], off offset:512
	s_waitcnt vmcnt(0)
	v_fma_mixlo_f16 v2, s1, v10, 0
	v_fma_mixlo_f16 v3, s1, v9, 0
	;; [unrolled: 1-line block ×4, first 2 shown]
	v_lshlrev_b32_e32 v2, 16, v2
	v_and_b32_e32 v3, 0xffff, v3
	v_and_b32_e32 v9, 0xffff, v9
	v_lshlrev_b32_e32 v10, 16, v10
	v_or_b32_e32 v2, v2, v3
	v_or3_b32 v3, v10, v9, 0
	v_or3_b32 v2, 0, 0, v2
	ds_write_b64 v8, v[2:3] offset:640
.LBB21_8:
	s_or_b32 exec_lo, exec_lo, s0
	v_or_b32_e32 v2, 3, v5
	v_and_b32_e32 v9, 7, v2
	v_mad_u64_u32 v[2:3], null, s8, v9, 0
	v_mad_u64_u32 v[9:10], null, s9, v9, v[3:4]
	v_mov_b32_e32 v3, v9
	v_lshlrev_b64 v[2:3], 2, v[2:3]
	v_add_co_u32 v2, s0, v6, v2
	v_add_co_ci_u32_e64 v3, null, v7, v3, s0
	global_load_dwordx4 v[9:12], v[2:3], off
	s_waitcnt vmcnt(0)
	v_fma_mixlo_f16 v6, s1, v10, 0
	v_fma_mixlo_f16 v7, s1, v9, 0
	;; [unrolled: 1-line block ×4, first 2 shown]
	v_lshlrev_b32_e32 v6, 16, v6
	v_and_b32_e32 v7, 0xffff, v7
	v_and_b32_e32 v9, 0xffff, v9
	v_lshlrev_b32_e32 v10, 16, v10
	v_or_b32_e32 v6, v6, v7
	v_or3_b32 v7, v10, v9, 0
	v_or3_b32 v6, 0, 0, v6
	ds_write_b64 v8, v[6:7] offset:768
	s_and_saveexec_b32 s0, vcc_lo
	s_cbranch_execz .LBB21_10
; %bb.9:
	global_load_dwordx4 v[9:12], v[2:3], off offset:512
	s_waitcnt vmcnt(0)
	v_fma_mixlo_f16 v2, s1, v10, 0
	v_fma_mixlo_f16 v3, s1, v9, 0
	;; [unrolled: 1-line block ×4, first 2 shown]
	v_lshlrev_b32_e32 v2, 16, v2
	v_and_b32_e32 v3, 0xffff, v3
	v_and_b32_e32 v6, 0xffff, v6
	v_lshlrev_b32_e32 v7, 16, v7
	v_or_b32_e32 v2, v2, v3
	v_or3_b32 v3, v7, v6, 0
	v_or3_b32 v2, 0, 0, v2
	ds_write_b64 v8, v[2:3] offset:1024
.LBB21_10:
	s_or_b32 exec_lo, exec_lo, s0
	s_cmp_eq_u64 s[18:19], 0
	s_waitcnt lgkmcnt(0)
	s_barrier
	buffer_gl0_inv
	s_cbranch_scc1 .LBB21_12
; %bb.11:
	s_load_dword s0, s[4:5], 0xd0
	s_mov_b32 s1, 0
	s_waitcnt lgkmcnt(0)
	s_mul_i32 s0, s0, s7
	s_add_i32 s0, s0, s6
	s_lshl_b64 s[0:1], s[0:1], 2
	s_add_u32 s0, s18, s0
	s_addc_u32 s1, s19, s1
	s_load_dword s30, s[0:1], 0x0
.LBB21_12:
	v_mbcnt_lo_u32_b32 v27, -1, 0
	s_lshl_b32 s6, s28, 6
	s_waitcnt lgkmcnt(0)
	s_cmp_lt_i32 s6, s30
	s_cbranch_scc1 .LBB21_15
; %bb.13:
	v_mbcnt_lo_u32_b32 v8, -1, 0
	v_mov_b32_e32 v28, 32
	v_xor_b32_e32 v60, 16, v8
	v_xor_b32_e32 v59, 8, v8
	;; [unrolled: 1-line block ×5, first 2 shown]
	v_lshlrev_b32_e32 v24, 2, v0
	s_cbranch_execz .LBB21_16
; %bb.14:
	v_mov_b32_e32 v40, 0
	v_mov_b32_e32 v6, 0
	v_mov_b32_e32 v4, 0xfeffffff
	v_mov_b32_e32 v3, 0xfeffffff
	v_mov_b32_e32 v2, 0xfeffffff
	v_mov_b32_e32 v1, 0xfeffffff
	v_mov_b32_e32 v7, 0
	v_mov_b32_e32 v55, 0
	v_mov_b32_e32 v54, 0
	v_mov_b32_e32 v48, 0
	v_mov_b32_e32 v39, 0
	v_mov_b32_e32 v47, 0
	v_mov_b32_e32 v38, 0
	v_mov_b32_e32 v45, 0
	v_mov_b32_e32 v42, 0
	v_mov_b32_e32 v41, 0
	s_branch .LBB21_52
.LBB21_15:
                                        ; implicit-def: $vgpr8
                                        ; implicit-def: $vgpr28
                                        ; implicit-def: $vgpr60
                                        ; implicit-def: $vgpr59
                                        ; implicit-def: $vgpr58
                                        ; implicit-def: $vgpr57
                                        ; implicit-def: $vgpr56
	v_lshlrev_b32_e32 v24, 2, v0
.LBB21_16:
	s_clause 0x1
	s_load_dwordx4 s[24:27], s[4:5], 0x98
	s_load_dwordx2 s[0:1], s[4:5], 0x8c
	s_sub_i32 s8, 0, s31
	s_abs_i32 s14, s29
	s_mul_i32 s8, s8, s38
	s_ashr_i32 s36, s37, 1
	s_mul_hi_u32 s8, s38, s8
	s_ashr_i32 s15, s29, 31
	s_add_i32 s38, s38, s8
	s_ashr_i32 s33, s33, 31
	s_mul_hi_u32 s37, s14, s38
	s_ashr_i32 s38, s7, 31
	s_load_dwordx2 s[18:19], s[4:5], 0xa8
	s_mul_i32 s39, s37, s31
	v_lshrrev_b32_e32 v2, 3, v0
	v_lshrrev_b32_e32 v6, 4, v0
	v_and_b32_e32 v11, 28, v24
	v_and_b32_e32 v12, 60, v24
	v_mad_u64_u32 v[14:15], null, v4, s36, v[0:1]
	s_waitcnt lgkmcnt(0)
	s_ashr_i32 s8, s26, 2
	s_ashr_i32 s9, s0, 2
	s_mul_hi_u32 s0, s24, s7
	s_mul_i32 s26, s24, s38
	s_mul_i32 s25, s25, s7
	s_add_i32 s0, s0, s26
	s_mul_i32 s24, s24, s7
	s_add_i32 s0, s0, s25
	s_add_u32 s24, s10, s24
	s_addc_u32 s0, s11, s0
	s_sub_i32 s14, s14, s39
	s_xor_b32 s11, s15, s33
	s_add_i32 s15, s37, 1
	s_sub_i32 s25, s14, s31
	s_cmp_ge_u32 s14, s31
	v_add_nc_u32_e32 v3, v2, v5
	v_lshl_add_u32 v9, v1, 1, v6
	s_cselect_b32 s15, s15, s37
	s_cselect_b32 s14, s25, s14
	s_add_i32 s25, s15, 1
	s_cmp_ge_u32 s14, s31
	v_mul_lo_u32 v2, s9, v3
	v_mul_lo_u32 v7, s8, v9
	s_cselect_b32 s14, s25, s15
	v_lshlrev_b32_e32 v5, 2, v11
	s_xor_b32 s14, s14, s11
	v_lshlrev_b32_e32 v10, 2, v12
	s_load_dword s10, s[4:5], 0x54
	s_sub_i32 s25, s14, s11
	v_mad_u32_u24 v8, 0x90, v3, v5
	s_mul_i32 s1, s25, s1
	v_lshl_add_u32 v5, s9, 5, v2
	v_lshl_or_b32 v10, v9, 8, v10
	v_lshl_add_u32 v9, s8, 4, v7
	s_mul_hi_u32 s15, s18, s7
	s_mul_i32 s26, s18, s38
	s_ashr_i32 s14, s1, 31
	s_add_u32 s11, s24, s1
	s_mul_i32 s19, s19, s7
	s_addc_u32 s14, s0, s14
	s_add_i32 s0, s15, s26
	s_mul_i32 s1, s18, s7
	s_add_i32 s0, s0, s19
	s_mul_i32 s25, s25, s27
	v_add_nc_u32_e32 v29, 0x3000, v8
	v_ashrrev_i32_e32 v3, 31, v2
	v_add_nc_u32_e32 v30, 0x4200, v8
	v_ashrrev_i32_e32 v6, 31, v5
	;; [unrolled: 2-line block ×4, first 2 shown]
	s_add_u32 s1, s12, s1
	s_addc_u32 s0, s13, s0
	s_ashr_i32 s13, s25, 31
	s_add_u32 s12, s1, s25
	s_addc_u32 s13, s0, s13
	s_movk_i32 s0, 0x3000
	v_lshlrev_b64 v[15:16], 2, v[2:3]
	v_lshlrev_b64 v[17:18], 2, v[5:6]
	;; [unrolled: 1-line block ×4, first 2 shown]
	v_mov_b32_e32 v41, 0
	v_mad_u32_u24 v31, 0x90, v0, s0
	v_lshl_add_u32 v32, v1, 9, 0x5400
	v_mov_b32_e32 v51, 0xfeffffff
	v_lshlrev_b32_e32 v35, 2, v11
	v_mov_b32_e32 v28, 32
	v_lshlrev_b32_e32 v36, 2, v12
	v_mov_b32_e32 v37, 0x10001
	v_mov_b32_e32 v42, 0
	v_mov_b32_e32 v45, 0
	v_mov_b32_e32 v38, 0
	v_mov_b32_e32 v47, 0
	v_mov_b32_e32 v39, 0
	v_mov_b32_e32 v48, 0
	v_mov_b32_e32 v40, 0
	v_mov_b32_e32 v53, 0xfeffffff
	v_mov_b32_e32 v52, 0xfeffffff
	v_mov_b32_e32 v50, 0xfeffffff
	v_mov_b32_e32 v49, 0
	v_mov_b32_e32 v46, 0
	v_mov_b32_e32 v44, 0
	v_mov_b32_e32 v43, 0
	s_add_u32 s0, s4, 0xd0
	s_addc_u32 s1, s5, 0
	s_mov_b32 s15, 0xbbbac73d
.LBB21_17:                              ; =>This Inner Loop Header: Depth=1
	s_mul_hi_i32 s19, s6, s9
	s_mul_i32 s18, s6, s9
	v_mov_b32_e32 v54, 0
	s_lshl_b64 s[18:19], s[18:19], 2
	v_mov_b32_e32 v55, 0
	s_add_u32 s18, s11, s18
	s_addc_u32 s19, s14, s19
	v_add_co_u32 v1, vcc_lo, s18, v15
	v_add_co_ci_u32_e64 v2, null, s19, v16, vcc_lo
	v_add_co_u32 v3, vcc_lo, s18, v17
	v_add_co_ci_u32_e64 v4, null, s19, v18, vcc_lo
	;; [unrolled: 2-line block ×4, first 2 shown]
	s_clause 0x1
	global_load_dwordx4 v[5:8], v[1:2], off
	global_load_dwordx4 v[9:12], v[3:4], off
	s_waitcnt vmcnt(1)
	ds_write_b128 v29, v[5:8]
	s_waitcnt vmcnt(0)
	ds_write_b128 v30, v[9:12]
	s_waitcnt lgkmcnt(0)
	s_barrier
	buffer_gl0_inv
	ds_read_b128 v[56:59], v31
	ds_read_b128 v[60:63], v26
	ds_read_b128 v[64:67], v26 offset:384
	ds_read_b128 v[68:71], v26 offset:768
	v_mov_b32_e32 v9, 0
	ds_read_b128 v[72:75], v26 offset:1152
	ds_read_b128 v[76:79], v31 offset:4608
	v_mov_b32_e32 v7, 0
	v_mov_b32_e32 v5, 0
	;; [unrolled: 1-line block ×4, first 2 shown]
	s_waitcnt lgkmcnt(4)
	;;#ASMSTART
	v_dot2_f32_f16 v9, v56, v60, v9
	;;#ASMEND
	;;#ASMSTART
	v_dot2_f32_f16 v9, v57, v61, v9
	;;#ASMEND
	;;#ASMSTART
	v_dot2_f32_f16 v9, v58, v62, v9
	;;#ASMEND
	;;#ASMSTART
	v_dot2_f32_f16 v9, v59, v63, v9
	;;#ASMEND
	s_waitcnt lgkmcnt(3)
	;;#ASMSTART
	v_dot2_f32_f16 v7, v56, v64, v7
	;;#ASMEND
	;;#ASMSTART
	v_dot2_f32_f16 v7, v57, v65, v7
	;;#ASMEND
	;;#ASMSTART
	v_dot2_f32_f16 v7, v58, v66, v7
	;;#ASMEND
	;;#ASMSTART
	v_dot2_f32_f16 v7, v59, v67, v7
	;;#ASMEND
	;; [unrolled: 13-line block ×5, first 2 shown]
	;;#ASMSTART
	v_dot2_f32_f16 v8, v76, v64, v8
	;;#ASMEND
	;;#ASMSTART
	v_dot2_f32_f16 v8, v77, v65, v8
	;;#ASMEND
	v_mov_b32_e32 v6, 0
	;;#ASMSTART
	v_dot2_f32_f16 v8, v78, v66, v8
	;;#ASMEND
	;;#ASMSTART
	v_dot2_f32_f16 v8, v79, v67, v8
	;;#ASMEND
	;; [unrolled: 3-line block ×10, first 2 shown]
	ds_read_b128 v[56:59], v31 offset:16
	ds_read_b128 v[60:63], v26 offset:16
	;; [unrolled: 1-line block ×6, first 2 shown]
	s_waitcnt lgkmcnt(4)
	;;#ASMSTART
	v_dot2_f32_f16 v9, v56, v60, v9
	;;#ASMEND
	;;#ASMSTART
	v_dot2_f32_f16 v9, v57, v61, v9
	;;#ASMEND
	;;#ASMSTART
	v_dot2_f32_f16 v9, v58, v62, v9
	;;#ASMEND
	;;#ASMSTART
	v_dot2_f32_f16 v9, v59, v63, v9
	;;#ASMEND
	s_waitcnt lgkmcnt(3)
	;;#ASMSTART
	v_dot2_f32_f16 v7, v56, v64, v7
	;;#ASMEND
	;;#ASMSTART
	v_dot2_f32_f16 v7, v57, v65, v7
	;;#ASMEND
	;;#ASMSTART
	v_dot2_f32_f16 v7, v58, v66, v7
	;;#ASMEND
	;;#ASMSTART
	v_dot2_f32_f16 v7, v59, v67, v7
	;;#ASMEND
	s_waitcnt lgkmcnt(2)
	;;#ASMSTART
	v_dot2_f32_f16 v5, v56, v68, v5
	;;#ASMEND
	;;#ASMSTART
	v_dot2_f32_f16 v5, v57, v69, v5
	;;#ASMEND
	;;#ASMSTART
	v_dot2_f32_f16 v5, v58, v70, v5
	;;#ASMEND
	;;#ASMSTART
	v_dot2_f32_f16 v5, v59, v71, v5
	;;#ASMEND
	s_waitcnt lgkmcnt(1)
	;;#ASMSTART
	v_dot2_f32_f16 v54, v56, v72, v54
	;;#ASMEND
	;;#ASMSTART
	v_dot2_f32_f16 v54, v57, v73, v54
	;;#ASMEND
	;;#ASMSTART
	v_dot2_f32_f16 v54, v58, v74, v54
	;;#ASMEND
	;;#ASMSTART
	v_dot2_f32_f16 v54, v59, v75, v54
	;;#ASMEND
	s_waitcnt lgkmcnt(0)
	;;#ASMSTART
	v_dot2_f32_f16 v10, v76, v60, v10
	;;#ASMEND
	;;#ASMSTART
	v_dot2_f32_f16 v10, v77, v61, v10
	;;#ASMEND
	;;#ASMSTART
	v_dot2_f32_f16 v10, v78, v62, v10
	;;#ASMEND
	;;#ASMSTART
	v_dot2_f32_f16 v10, v79, v63, v10
	;;#ASMEND
	;;#ASMSTART
	v_dot2_f32_f16 v8, v76, v64, v8
	;;#ASMEND
	;;#ASMSTART
	v_dot2_f32_f16 v8, v77, v65, v8
	;;#ASMEND
	;; [unrolled: 3-line block ×12, first 2 shown]
	ds_read_b128 v[56:59], v31 offset:32
	ds_read_b128 v[60:63], v26 offset:32
	ds_read_b128 v[64:67], v26 offset:416
	ds_read_b128 v[68:71], v26 offset:800
	ds_read_b128 v[72:75], v26 offset:1184
	ds_read_b128 v[76:79], v31 offset:4640
	s_waitcnt lgkmcnt(4)
	;;#ASMSTART
	v_dot2_f32_f16 v9, v56, v60, v9
	;;#ASMEND
	;;#ASMSTART
	v_dot2_f32_f16 v9, v57, v61, v9
	;;#ASMEND
	;;#ASMSTART
	v_dot2_f32_f16 v9, v58, v62, v9
	;;#ASMEND
	;;#ASMSTART
	v_dot2_f32_f16 v9, v59, v63, v9
	;;#ASMEND
	s_waitcnt lgkmcnt(3)
	;;#ASMSTART
	v_dot2_f32_f16 v7, v56, v64, v7
	;;#ASMEND
	;;#ASMSTART
	v_dot2_f32_f16 v7, v57, v65, v7
	;;#ASMEND
	;;#ASMSTART
	v_dot2_f32_f16 v7, v58, v66, v7
	;;#ASMEND
	;;#ASMSTART
	v_dot2_f32_f16 v7, v59, v67, v7
	;;#ASMEND
	;; [unrolled: 13-line block ×5, first 2 shown]
	;;#ASMSTART
	v_dot2_f32_f16 v8, v76, v64, v8
	;;#ASMEND
	;;#ASMSTART
	v_dot2_f32_f16 v8, v77, v65, v8
	;;#ASMEND
	;; [unrolled: 3-line block ×12, first 2 shown]
	ds_read_b128 v[56:59], v31 offset:48
	ds_read_b128 v[60:63], v26 offset:48
	;; [unrolled: 1-line block ×6, first 2 shown]
	s_waitcnt lgkmcnt(4)
	;;#ASMSTART
	v_dot2_f32_f16 v9, v56, v60, v9
	;;#ASMEND
	;;#ASMSTART
	v_dot2_f32_f16 v9, v57, v61, v9
	;;#ASMEND
	;;#ASMSTART
	v_dot2_f32_f16 v9, v58, v62, v9
	;;#ASMEND
	;;#ASMSTART
	v_dot2_f32_f16 v9, v59, v63, v9
	;;#ASMEND
	s_waitcnt lgkmcnt(3)
	;;#ASMSTART
	v_dot2_f32_f16 v7, v56, v64, v7
	;;#ASMEND
	;;#ASMSTART
	v_dot2_f32_f16 v7, v57, v65, v7
	;;#ASMEND
	;;#ASMSTART
	v_dot2_f32_f16 v7, v58, v66, v7
	;;#ASMEND
	;;#ASMSTART
	v_dot2_f32_f16 v7, v59, v67, v7
	;;#ASMEND
	;; [unrolled: 13-line block ×5, first 2 shown]
	;;#ASMSTART
	v_dot2_f32_f16 v8, v76, v64, v8
	;;#ASMEND
	;;#ASMSTART
	v_dot2_f32_f16 v8, v77, v65, v8
	;;#ASMEND
	;; [unrolled: 3-line block ×12, first 2 shown]
	ds_read_b128 v[56:59], v31 offset:64
	ds_read_b128 v[60:63], v26 offset:64
	;; [unrolled: 1-line block ×6, first 2 shown]
	s_waitcnt lgkmcnt(4)
	;;#ASMSTART
	v_dot2_f32_f16 v9, v56, v60, v9
	;;#ASMEND
	;;#ASMSTART
	v_dot2_f32_f16 v9, v57, v61, v9
	;;#ASMEND
	;;#ASMSTART
	v_dot2_f32_f16 v9, v58, v62, v9
	;;#ASMEND
	;;#ASMSTART
	v_dot2_f32_f16 v9, v59, v63, v9
	;;#ASMEND
	s_waitcnt lgkmcnt(3)
	;;#ASMSTART
	v_dot2_f32_f16 v7, v56, v64, v7
	;;#ASMEND
	;;#ASMSTART
	v_dot2_f32_f16 v7, v57, v65, v7
	;;#ASMEND
	;;#ASMSTART
	v_dot2_f32_f16 v7, v58, v66, v7
	;;#ASMEND
	;;#ASMSTART
	v_dot2_f32_f16 v7, v59, v67, v7
	;;#ASMEND
	s_waitcnt lgkmcnt(2)
	;;#ASMSTART
	v_dot2_f32_f16 v5, v56, v68, v5
	;;#ASMEND
	;;#ASMSTART
	v_dot2_f32_f16 v5, v57, v69, v5
	;;#ASMEND
	;;#ASMSTART
	v_dot2_f32_f16 v5, v58, v70, v5
	;;#ASMEND
	;;#ASMSTART
	v_dot2_f32_f16 v5, v59, v71, v5
	;;#ASMEND
	s_waitcnt lgkmcnt(1)
	;;#ASMSTART
	v_dot2_f32_f16 v54, v56, v72, v54
	;;#ASMEND
	;;#ASMSTART
	v_dot2_f32_f16 v54, v57, v73, v54
	;;#ASMEND
	;;#ASMSTART
	v_dot2_f32_f16 v54, v58, v74, v54
	;;#ASMEND
	;;#ASMSTART
	v_dot2_f32_f16 v54, v59, v75, v54
	;;#ASMEND
	s_waitcnt lgkmcnt(0)
	;;#ASMSTART
	v_dot2_f32_f16 v10, v76, v60, v10
	;;#ASMEND
	;;#ASMSTART
	v_dot2_f32_f16 v10, v77, v61, v10
	;;#ASMEND
	;;#ASMSTART
	v_dot2_f32_f16 v10, v78, v62, v10
	;;#ASMEND
	;;#ASMSTART
	v_dot2_f32_f16 v10, v79, v63, v10
	;;#ASMEND
	;;#ASMSTART
	v_dot2_f32_f16 v8, v76, v64, v8
	;;#ASMEND
	;;#ASMSTART
	v_dot2_f32_f16 v8, v77, v65, v8
	;;#ASMEND
	;; [unrolled: 3-line block ×12, first 2 shown]
	ds_read_b128 v[56:59], v31 offset:80
	ds_read_b128 v[60:63], v26 offset:80
	;; [unrolled: 1-line block ×6, first 2 shown]
	s_waitcnt lgkmcnt(4)
	;;#ASMSTART
	v_dot2_f32_f16 v9, v56, v60, v9
	;;#ASMEND
	;;#ASMSTART
	v_dot2_f32_f16 v9, v57, v61, v9
	;;#ASMEND
	;;#ASMSTART
	v_dot2_f32_f16 v9, v58, v62, v9
	;;#ASMEND
	;;#ASMSTART
	v_dot2_f32_f16 v9, v59, v63, v9
	;;#ASMEND
	s_waitcnt lgkmcnt(3)
	;;#ASMSTART
	v_dot2_f32_f16 v7, v56, v64, v7
	;;#ASMEND
	;;#ASMSTART
	v_dot2_f32_f16 v7, v57, v65, v7
	;;#ASMEND
	;;#ASMSTART
	v_dot2_f32_f16 v7, v58, v66, v7
	;;#ASMEND
	;;#ASMSTART
	v_dot2_f32_f16 v7, v59, v67, v7
	;;#ASMEND
	;; [unrolled: 13-line block ×5, first 2 shown]
	;;#ASMSTART
	v_dot2_f32_f16 v8, v76, v64, v8
	;;#ASMEND
	;;#ASMSTART
	v_dot2_f32_f16 v8, v77, v65, v8
	;;#ASMEND
	;; [unrolled: 3-line block ×12, first 2 shown]
	ds_read_b128 v[56:59], v31 offset:96
	ds_read_b128 v[60:63], v26 offset:96
	;; [unrolled: 1-line block ×6, first 2 shown]
	s_waitcnt lgkmcnt(4)
	;;#ASMSTART
	v_dot2_f32_f16 v9, v56, v60, v9
	;;#ASMEND
	;;#ASMSTART
	v_dot2_f32_f16 v9, v57, v61, v9
	;;#ASMEND
	;;#ASMSTART
	v_dot2_f32_f16 v9, v58, v62, v9
	;;#ASMEND
	;;#ASMSTART
	v_dot2_f32_f16 v9, v59, v63, v9
	;;#ASMEND
	s_waitcnt lgkmcnt(3)
	;;#ASMSTART
	v_dot2_f32_f16 v7, v56, v64, v7
	;;#ASMEND
	;;#ASMSTART
	v_dot2_f32_f16 v7, v57, v65, v7
	;;#ASMEND
	;;#ASMSTART
	v_dot2_f32_f16 v7, v58, v66, v7
	;;#ASMEND
	;;#ASMSTART
	v_dot2_f32_f16 v7, v59, v67, v7
	;;#ASMEND
	;; [unrolled: 13-line block ×5, first 2 shown]
	;;#ASMSTART
	v_dot2_f32_f16 v8, v76, v64, v8
	;;#ASMEND
	;;#ASMSTART
	v_dot2_f32_f16 v8, v77, v65, v8
	;;#ASMEND
	;; [unrolled: 3-line block ×12, first 2 shown]
	ds_read_b128 v[56:59], v31 offset:112
	ds_read_b128 v[60:63], v26 offset:112
	;; [unrolled: 1-line block ×6, first 2 shown]
	s_waitcnt lgkmcnt(4)
	;;#ASMSTART
	v_dot2_f32_f16 v9, v56, v60, v9
	;;#ASMEND
	;;#ASMSTART
	v_dot2_f32_f16 v9, v57, v61, v9
	;;#ASMEND
	;;#ASMSTART
	v_dot2_f32_f16 v9, v58, v62, v9
	;;#ASMEND
	;;#ASMSTART
	v_dot2_f32_f16 v9, v59, v63, v9
	;;#ASMEND
	s_waitcnt lgkmcnt(3)
	;;#ASMSTART
	v_dot2_f32_f16 v7, v56, v64, v7
	;;#ASMEND
	;;#ASMSTART
	v_dot2_f32_f16 v7, v57, v65, v7
	;;#ASMEND
	;;#ASMSTART
	v_dot2_f32_f16 v7, v58, v66, v7
	;;#ASMEND
	;;#ASMSTART
	v_dot2_f32_f16 v7, v59, v67, v7
	;;#ASMEND
	;; [unrolled: 13-line block ×5, first 2 shown]
	;;#ASMSTART
	v_dot2_f32_f16 v8, v76, v64, v8
	;;#ASMEND
	;;#ASMSTART
	v_dot2_f32_f16 v8, v77, v65, v8
	;;#ASMEND
	;; [unrolled: 3-line block ×12, first 2 shown]
	s_barrier
	buffer_gl0_inv
	s_clause 0x1
	global_load_dwordx4 v[56:59], v[1:2], off offset:128
	global_load_dwordx4 v[60:63], v[3:4], off offset:128
	s_waitcnt vmcnt(1)
	ds_write_b128 v29, v[56:59]
	s_waitcnt vmcnt(0)
	ds_write_b128 v30, v[60:63]
	s_waitcnt lgkmcnt(0)
	s_barrier
	buffer_gl0_inv
	ds_read_b128 v[56:59], v31
	ds_read_b128 v[60:63], v26 offset:128
	ds_read_b128 v[64:67], v26 offset:512
	;; [unrolled: 1-line block ×5, first 2 shown]
	s_waitcnt lgkmcnt(4)
	;;#ASMSTART
	v_dot2_f32_f16 v9, v56, v60, v9
	;;#ASMEND
	;;#ASMSTART
	v_dot2_f32_f16 v9, v57, v61, v9
	;;#ASMEND
	;;#ASMSTART
	v_dot2_f32_f16 v9, v58, v62, v9
	;;#ASMEND
	;;#ASMSTART
	v_dot2_f32_f16 v9, v59, v63, v9
	;;#ASMEND
	s_waitcnt lgkmcnt(3)
	;;#ASMSTART
	v_dot2_f32_f16 v7, v56, v64, v7
	;;#ASMEND
	;;#ASMSTART
	v_dot2_f32_f16 v7, v57, v65, v7
	;;#ASMEND
	;;#ASMSTART
	v_dot2_f32_f16 v7, v58, v66, v7
	;;#ASMEND
	;;#ASMSTART
	v_dot2_f32_f16 v7, v59, v67, v7
	;;#ASMEND
	;; [unrolled: 13-line block ×5, first 2 shown]
	;;#ASMSTART
	v_dot2_f32_f16 v8, v76, v64, v8
	;;#ASMEND
	;;#ASMSTART
	v_dot2_f32_f16 v8, v77, v65, v8
	;;#ASMEND
	;;#ASMSTART
	v_dot2_f32_f16 v8, v78, v66, v8
	;;#ASMEND
	;;#ASMSTART
	v_dot2_f32_f16 v8, v79, v67, v8
	;;#ASMEND
	;;#ASMSTART
	v_dot2_f32_f16 v6, v76, v68, v6
	;;#ASMEND
	;;#ASMSTART
	v_dot2_f32_f16 v6, v77, v69, v6
	;;#ASMEND
	;;#ASMSTART
	v_dot2_f32_f16 v6, v78, v70, v6
	;;#ASMEND
	;;#ASMSTART
	v_dot2_f32_f16 v6, v79, v71, v6
	;;#ASMEND
	;;#ASMSTART
	v_dot2_f32_f16 v55, v76, v72, v55
	;;#ASMEND
	;;#ASMSTART
	v_dot2_f32_f16 v55, v77, v73, v55
	;;#ASMEND
	;;#ASMSTART
	v_dot2_f32_f16 v55, v78, v74, v55
	;;#ASMEND
	;;#ASMSTART
	v_dot2_f32_f16 v55, v79, v75, v55
	;;#ASMEND
	ds_read_b128 v[56:59], v31 offset:16
	ds_read_b128 v[60:63], v26 offset:144
	;; [unrolled: 1-line block ×6, first 2 shown]
	s_waitcnt lgkmcnt(4)
	;;#ASMSTART
	v_dot2_f32_f16 v9, v56, v60, v9
	;;#ASMEND
	;;#ASMSTART
	v_dot2_f32_f16 v9, v57, v61, v9
	;;#ASMEND
	;;#ASMSTART
	v_dot2_f32_f16 v9, v58, v62, v9
	;;#ASMEND
	;;#ASMSTART
	v_dot2_f32_f16 v9, v59, v63, v9
	;;#ASMEND
	s_waitcnt lgkmcnt(3)
	;;#ASMSTART
	v_dot2_f32_f16 v7, v56, v64, v7
	;;#ASMEND
	;;#ASMSTART
	v_dot2_f32_f16 v7, v57, v65, v7
	;;#ASMEND
	;;#ASMSTART
	v_dot2_f32_f16 v7, v58, v66, v7
	;;#ASMEND
	;;#ASMSTART
	v_dot2_f32_f16 v7, v59, v67, v7
	;;#ASMEND
	;; [unrolled: 13-line block ×5, first 2 shown]
	;;#ASMSTART
	v_dot2_f32_f16 v8, v76, v64, v8
	;;#ASMEND
	;;#ASMSTART
	v_dot2_f32_f16 v8, v77, v65, v8
	;;#ASMEND
	;;#ASMSTART
	v_dot2_f32_f16 v8, v78, v66, v8
	;;#ASMEND
	;;#ASMSTART
	v_dot2_f32_f16 v8, v79, v67, v8
	;;#ASMEND
	;;#ASMSTART
	v_dot2_f32_f16 v6, v76, v68, v6
	;;#ASMEND
	;;#ASMSTART
	v_dot2_f32_f16 v6, v77, v69, v6
	;;#ASMEND
	;;#ASMSTART
	v_dot2_f32_f16 v6, v78, v70, v6
	;;#ASMEND
	;;#ASMSTART
	v_dot2_f32_f16 v6, v79, v71, v6
	;;#ASMEND
	;;#ASMSTART
	v_dot2_f32_f16 v55, v76, v72, v55
	;;#ASMEND
	;;#ASMSTART
	v_dot2_f32_f16 v55, v77, v73, v55
	;;#ASMEND
	;;#ASMSTART
	v_dot2_f32_f16 v55, v78, v74, v55
	;;#ASMEND
	;;#ASMSTART
	v_dot2_f32_f16 v55, v79, v75, v55
	;;#ASMEND
	ds_read_b128 v[56:59], v31 offset:32
	ds_read_b128 v[60:63], v26 offset:160
	;; [unrolled: 1-line block ×6, first 2 shown]
	s_waitcnt lgkmcnt(4)
	;;#ASMSTART
	v_dot2_f32_f16 v9, v56, v60, v9
	;;#ASMEND
	;;#ASMSTART
	v_dot2_f32_f16 v9, v57, v61, v9
	;;#ASMEND
	;;#ASMSTART
	v_dot2_f32_f16 v9, v58, v62, v9
	;;#ASMEND
	;;#ASMSTART
	v_dot2_f32_f16 v9, v59, v63, v9
	;;#ASMEND
	s_waitcnt lgkmcnt(3)
	;;#ASMSTART
	v_dot2_f32_f16 v7, v56, v64, v7
	;;#ASMEND
	;;#ASMSTART
	v_dot2_f32_f16 v7, v57, v65, v7
	;;#ASMEND
	;;#ASMSTART
	v_dot2_f32_f16 v7, v58, v66, v7
	;;#ASMEND
	;;#ASMSTART
	v_dot2_f32_f16 v7, v59, v67, v7
	;;#ASMEND
	;; [unrolled: 13-line block ×5, first 2 shown]
	;;#ASMSTART
	v_dot2_f32_f16 v8, v76, v64, v8
	;;#ASMEND
	;;#ASMSTART
	v_dot2_f32_f16 v8, v77, v65, v8
	;;#ASMEND
	;; [unrolled: 3-line block ×12, first 2 shown]
	ds_read_b128 v[56:59], v31 offset:48
	ds_read_b128 v[60:63], v26 offset:176
	;; [unrolled: 1-line block ×6, first 2 shown]
	s_waitcnt lgkmcnt(4)
	;;#ASMSTART
	v_dot2_f32_f16 v9, v56, v60, v9
	;;#ASMEND
	;;#ASMSTART
	v_dot2_f32_f16 v9, v57, v61, v9
	;;#ASMEND
	;;#ASMSTART
	v_dot2_f32_f16 v9, v58, v62, v9
	;;#ASMEND
	;;#ASMSTART
	v_dot2_f32_f16 v9, v59, v63, v9
	;;#ASMEND
	s_waitcnt lgkmcnt(3)
	;;#ASMSTART
	v_dot2_f32_f16 v7, v56, v64, v7
	;;#ASMEND
	;;#ASMSTART
	v_dot2_f32_f16 v7, v57, v65, v7
	;;#ASMEND
	;;#ASMSTART
	v_dot2_f32_f16 v7, v58, v66, v7
	;;#ASMEND
	;;#ASMSTART
	v_dot2_f32_f16 v7, v59, v67, v7
	;;#ASMEND
	s_waitcnt lgkmcnt(2)
	;;#ASMSTART
	v_dot2_f32_f16 v5, v56, v68, v5
	;;#ASMEND
	;;#ASMSTART
	v_dot2_f32_f16 v5, v57, v69, v5
	;;#ASMEND
	;;#ASMSTART
	v_dot2_f32_f16 v5, v58, v70, v5
	;;#ASMEND
	;;#ASMSTART
	v_dot2_f32_f16 v5, v59, v71, v5
	;;#ASMEND
	s_waitcnt lgkmcnt(1)
	;;#ASMSTART
	v_dot2_f32_f16 v54, v56, v72, v54
	;;#ASMEND
	;;#ASMSTART
	v_dot2_f32_f16 v54, v57, v73, v54
	;;#ASMEND
	;;#ASMSTART
	v_dot2_f32_f16 v54, v58, v74, v54
	;;#ASMEND
	;;#ASMSTART
	v_dot2_f32_f16 v54, v59, v75, v54
	;;#ASMEND
	s_waitcnt lgkmcnt(0)
	;;#ASMSTART
	v_dot2_f32_f16 v10, v76, v60, v10
	;;#ASMEND
	;;#ASMSTART
	v_dot2_f32_f16 v10, v77, v61, v10
	;;#ASMEND
	;;#ASMSTART
	v_dot2_f32_f16 v10, v78, v62, v10
	;;#ASMEND
	;;#ASMSTART
	v_dot2_f32_f16 v10, v79, v63, v10
	;;#ASMEND
	;;#ASMSTART
	v_dot2_f32_f16 v8, v76, v64, v8
	;;#ASMEND
	;;#ASMSTART
	v_dot2_f32_f16 v8, v77, v65, v8
	;;#ASMEND
	;; [unrolled: 3-line block ×12, first 2 shown]
	ds_read_b128 v[56:59], v31 offset:64
	ds_read_b128 v[60:63], v26 offset:192
	;; [unrolled: 1-line block ×6, first 2 shown]
	s_waitcnt lgkmcnt(4)
	;;#ASMSTART
	v_dot2_f32_f16 v9, v56, v60, v9
	;;#ASMEND
	;;#ASMSTART
	v_dot2_f32_f16 v9, v57, v61, v9
	;;#ASMEND
	;;#ASMSTART
	v_dot2_f32_f16 v9, v58, v62, v9
	;;#ASMEND
	;;#ASMSTART
	v_dot2_f32_f16 v9, v59, v63, v9
	;;#ASMEND
	s_waitcnt lgkmcnt(3)
	;;#ASMSTART
	v_dot2_f32_f16 v7, v56, v64, v7
	;;#ASMEND
	;;#ASMSTART
	v_dot2_f32_f16 v7, v57, v65, v7
	;;#ASMEND
	;;#ASMSTART
	v_dot2_f32_f16 v7, v58, v66, v7
	;;#ASMEND
	;;#ASMSTART
	v_dot2_f32_f16 v7, v59, v67, v7
	;;#ASMEND
	;; [unrolled: 13-line block ×5, first 2 shown]
	;;#ASMSTART
	v_dot2_f32_f16 v8, v76, v64, v8
	;;#ASMEND
	;;#ASMSTART
	v_dot2_f32_f16 v8, v77, v65, v8
	;;#ASMEND
	;;#ASMSTART
	v_dot2_f32_f16 v8, v78, v66, v8
	;;#ASMEND
	;;#ASMSTART
	v_dot2_f32_f16 v8, v79, v67, v8
	;;#ASMEND
	;;#ASMSTART
	v_dot2_f32_f16 v6, v76, v68, v6
	;;#ASMEND
	;;#ASMSTART
	v_dot2_f32_f16 v6, v77, v69, v6
	;;#ASMEND
	;;#ASMSTART
	v_dot2_f32_f16 v6, v78, v70, v6
	;;#ASMEND
	;;#ASMSTART
	v_dot2_f32_f16 v6, v79, v71, v6
	;;#ASMEND
	;;#ASMSTART
	v_dot2_f32_f16 v55, v76, v72, v55
	;;#ASMEND
	;;#ASMSTART
	v_dot2_f32_f16 v55, v77, v73, v55
	;;#ASMEND
	;;#ASMSTART
	v_dot2_f32_f16 v55, v78, v74, v55
	;;#ASMEND
	;;#ASMSTART
	v_dot2_f32_f16 v55, v79, v75, v55
	;;#ASMEND
	ds_read_b128 v[56:59], v31 offset:80
	ds_read_b128 v[60:63], v26 offset:208
	;; [unrolled: 1-line block ×6, first 2 shown]
	s_waitcnt lgkmcnt(4)
	;;#ASMSTART
	v_dot2_f32_f16 v9, v56, v60, v9
	;;#ASMEND
	;;#ASMSTART
	v_dot2_f32_f16 v9, v57, v61, v9
	;;#ASMEND
	;;#ASMSTART
	v_dot2_f32_f16 v9, v58, v62, v9
	;;#ASMEND
	;;#ASMSTART
	v_dot2_f32_f16 v9, v59, v63, v9
	;;#ASMEND
	s_waitcnt lgkmcnt(3)
	;;#ASMSTART
	v_dot2_f32_f16 v7, v56, v64, v7
	;;#ASMEND
	;;#ASMSTART
	v_dot2_f32_f16 v7, v57, v65, v7
	;;#ASMEND
	;;#ASMSTART
	v_dot2_f32_f16 v7, v58, v66, v7
	;;#ASMEND
	;;#ASMSTART
	v_dot2_f32_f16 v7, v59, v67, v7
	;;#ASMEND
	;; [unrolled: 13-line block ×5, first 2 shown]
	;;#ASMSTART
	v_dot2_f32_f16 v8, v76, v64, v8
	;;#ASMEND
	;;#ASMSTART
	v_dot2_f32_f16 v8, v77, v65, v8
	;;#ASMEND
	;;#ASMSTART
	v_dot2_f32_f16 v8, v78, v66, v8
	;;#ASMEND
	;;#ASMSTART
	v_dot2_f32_f16 v8, v79, v67, v8
	;;#ASMEND
	;;#ASMSTART
	v_dot2_f32_f16 v6, v76, v68, v6
	;;#ASMEND
	;;#ASMSTART
	v_dot2_f32_f16 v6, v77, v69, v6
	;;#ASMEND
	;;#ASMSTART
	v_dot2_f32_f16 v6, v78, v70, v6
	;;#ASMEND
	;;#ASMSTART
	v_dot2_f32_f16 v6, v79, v71, v6
	;;#ASMEND
	;;#ASMSTART
	v_dot2_f32_f16 v55, v76, v72, v55
	;;#ASMEND
	;;#ASMSTART
	v_dot2_f32_f16 v55, v77, v73, v55
	;;#ASMEND
	;;#ASMSTART
	v_dot2_f32_f16 v55, v78, v74, v55
	;;#ASMEND
	;;#ASMSTART
	v_dot2_f32_f16 v55, v79, v75, v55
	;;#ASMEND
	ds_read_b128 v[56:59], v31 offset:96
	ds_read_b128 v[60:63], v26 offset:224
	;; [unrolled: 1-line block ×6, first 2 shown]
	s_waitcnt lgkmcnt(4)
	;;#ASMSTART
	v_dot2_f32_f16 v9, v56, v60, v9
	;;#ASMEND
	;;#ASMSTART
	v_dot2_f32_f16 v9, v57, v61, v9
	;;#ASMEND
	;;#ASMSTART
	v_dot2_f32_f16 v9, v58, v62, v9
	;;#ASMEND
	;;#ASMSTART
	v_dot2_f32_f16 v9, v59, v63, v9
	;;#ASMEND
	s_waitcnt lgkmcnt(3)
	;;#ASMSTART
	v_dot2_f32_f16 v7, v56, v64, v7
	;;#ASMEND
	;;#ASMSTART
	v_dot2_f32_f16 v7, v57, v65, v7
	;;#ASMEND
	;;#ASMSTART
	v_dot2_f32_f16 v7, v58, v66, v7
	;;#ASMEND
	;;#ASMSTART
	v_dot2_f32_f16 v7, v59, v67, v7
	;;#ASMEND
	;; [unrolled: 13-line block ×5, first 2 shown]
	;;#ASMSTART
	v_dot2_f32_f16 v8, v76, v64, v8
	;;#ASMEND
	;;#ASMSTART
	v_dot2_f32_f16 v8, v77, v65, v8
	;;#ASMEND
	;; [unrolled: 3-line block ×12, first 2 shown]
	ds_read_b128 v[56:59], v31 offset:112
	ds_read_b128 v[60:63], v26 offset:240
	;; [unrolled: 1-line block ×6, first 2 shown]
	s_waitcnt lgkmcnt(4)
	;;#ASMSTART
	v_dot2_f32_f16 v9, v56, v60, v9
	;;#ASMEND
	;;#ASMSTART
	v_dot2_f32_f16 v9, v57, v61, v9
	;;#ASMEND
	;;#ASMSTART
	v_dot2_f32_f16 v9, v58, v62, v9
	;;#ASMEND
	;;#ASMSTART
	v_dot2_f32_f16 v9, v59, v63, v9
	;;#ASMEND
	s_waitcnt lgkmcnt(3)
	;;#ASMSTART
	v_dot2_f32_f16 v7, v56, v64, v7
	;;#ASMEND
	;;#ASMSTART
	v_dot2_f32_f16 v7, v57, v65, v7
	;;#ASMEND
	;;#ASMSTART
	v_dot2_f32_f16 v7, v58, v66, v7
	;;#ASMEND
	;;#ASMSTART
	v_dot2_f32_f16 v7, v59, v67, v7
	;;#ASMEND
	;; [unrolled: 13-line block ×5, first 2 shown]
	;;#ASMSTART
	v_dot2_f32_f16 v8, v76, v64, v8
	;;#ASMEND
	;;#ASMSTART
	v_dot2_f32_f16 v8, v77, v65, v8
	;;#ASMEND
	;; [unrolled: 3-line block ×12, first 2 shown]
	s_barrier
	buffer_gl0_inv
	s_clause 0x1
	global_load_dwordx4 v[56:59], v[1:2], off offset:256
	global_load_dwordx4 v[1:4], v[3:4], off offset:256
	s_waitcnt vmcnt(1)
	ds_write_b128 v29, v[56:59]
	s_waitcnt vmcnt(0)
	ds_write_b128 v30, v[1:4]
	s_waitcnt lgkmcnt(0)
	s_barrier
	buffer_gl0_inv
	ds_read_b128 v[1:4], v31
	ds_read_b128 v[56:59], v26 offset:256
	ds_read_b128 v[60:63], v26 offset:640
	;; [unrolled: 1-line block ×5, first 2 shown]
	s_waitcnt lgkmcnt(4)
	;;#ASMSTART
	v_dot2_f32_f16 v9, v1, v56, v9
	;;#ASMEND
	;;#ASMSTART
	v_dot2_f32_f16 v9, v2, v57, v9
	;;#ASMEND
	;;#ASMSTART
	v_dot2_f32_f16 v9, v3, v58, v9
	;;#ASMEND
	;;#ASMSTART
	v_dot2_f32_f16 v9, v4, v59, v9
	;;#ASMEND
	s_waitcnt lgkmcnt(3)
	;;#ASMSTART
	v_dot2_f32_f16 v7, v1, v60, v7
	;;#ASMEND
	;;#ASMSTART
	v_dot2_f32_f16 v7, v2, v61, v7
	;;#ASMEND
	;;#ASMSTART
	v_dot2_f32_f16 v7, v3, v62, v7
	;;#ASMEND
	;;#ASMSTART
	v_dot2_f32_f16 v7, v4, v63, v7
	;;#ASMEND
	;; [unrolled: 13-line block ×5, first 2 shown]
	;;#ASMSTART
	v_dot2_f32_f16 v8, v72, v60, v8
	;;#ASMEND
	;;#ASMSTART
	v_dot2_f32_f16 v8, v73, v61, v8
	;;#ASMEND
	;; [unrolled: 3-line block ×12, first 2 shown]
	ds_read_b128 v[1:4], v31 offset:16
	ds_read_b128 v[56:59], v26 offset:272
	;; [unrolled: 1-line block ×6, first 2 shown]
	s_waitcnt lgkmcnt(4)
	;;#ASMSTART
	v_dot2_f32_f16 v9, v1, v56, v9
	;;#ASMEND
	;;#ASMSTART
	v_dot2_f32_f16 v9, v2, v57, v9
	;;#ASMEND
	;;#ASMSTART
	v_dot2_f32_f16 v9, v3, v58, v9
	;;#ASMEND
	;;#ASMSTART
	v_dot2_f32_f16 v9, v4, v59, v9
	;;#ASMEND
	s_waitcnt lgkmcnt(3)
	;;#ASMSTART
	v_dot2_f32_f16 v7, v1, v60, v7
	;;#ASMEND
	;;#ASMSTART
	v_dot2_f32_f16 v7, v2, v61, v7
	;;#ASMEND
	;;#ASMSTART
	v_dot2_f32_f16 v7, v3, v62, v7
	;;#ASMEND
	;;#ASMSTART
	v_dot2_f32_f16 v7, v4, v63, v7
	;;#ASMEND
	;; [unrolled: 13-line block ×5, first 2 shown]
	;;#ASMSTART
	v_dot2_f32_f16 v8, v72, v60, v8
	;;#ASMEND
	;;#ASMSTART
	v_dot2_f32_f16 v8, v73, v61, v8
	;;#ASMEND
	;; [unrolled: 3-line block ×12, first 2 shown]
	ds_read_b128 v[1:4], v31 offset:32
	ds_read_b128 v[56:59], v26 offset:288
	;; [unrolled: 1-line block ×6, first 2 shown]
	s_waitcnt lgkmcnt(4)
	;;#ASMSTART
	v_dot2_f32_f16 v9, v1, v56, v9
	;;#ASMEND
	;;#ASMSTART
	v_dot2_f32_f16 v9, v2, v57, v9
	;;#ASMEND
	;;#ASMSTART
	v_dot2_f32_f16 v9, v3, v58, v9
	;;#ASMEND
	;;#ASMSTART
	v_dot2_f32_f16 v9, v4, v59, v9
	;;#ASMEND
	s_waitcnt lgkmcnt(3)
	;;#ASMSTART
	v_dot2_f32_f16 v7, v1, v60, v7
	;;#ASMEND
	;;#ASMSTART
	v_dot2_f32_f16 v7, v2, v61, v7
	;;#ASMEND
	;;#ASMSTART
	v_dot2_f32_f16 v7, v3, v62, v7
	;;#ASMEND
	;;#ASMSTART
	v_dot2_f32_f16 v7, v4, v63, v7
	;;#ASMEND
	;; [unrolled: 13-line block ×5, first 2 shown]
	;;#ASMSTART
	v_dot2_f32_f16 v8, v72, v60, v8
	;;#ASMEND
	;;#ASMSTART
	v_dot2_f32_f16 v8, v73, v61, v8
	;;#ASMEND
	;; [unrolled: 3-line block ×12, first 2 shown]
	ds_read_b128 v[1:4], v31 offset:48
	ds_read_b128 v[56:59], v26 offset:304
	;; [unrolled: 1-line block ×6, first 2 shown]
	s_waitcnt lgkmcnt(4)
	;;#ASMSTART
	v_dot2_f32_f16 v9, v1, v56, v9
	;;#ASMEND
	;;#ASMSTART
	v_dot2_f32_f16 v9, v2, v57, v9
	;;#ASMEND
	;;#ASMSTART
	v_dot2_f32_f16 v9, v3, v58, v9
	;;#ASMEND
	;;#ASMSTART
	v_dot2_f32_f16 v9, v4, v59, v9
	;;#ASMEND
	s_waitcnt lgkmcnt(3)
	;;#ASMSTART
	v_dot2_f32_f16 v7, v1, v60, v7
	;;#ASMEND
	;;#ASMSTART
	v_dot2_f32_f16 v7, v2, v61, v7
	;;#ASMEND
	;;#ASMSTART
	v_dot2_f32_f16 v7, v3, v62, v7
	;;#ASMEND
	;;#ASMSTART
	v_dot2_f32_f16 v7, v4, v63, v7
	;;#ASMEND
	;; [unrolled: 13-line block ×5, first 2 shown]
	;;#ASMSTART
	v_dot2_f32_f16 v8, v72, v60, v8
	;;#ASMEND
	;;#ASMSTART
	v_dot2_f32_f16 v8, v73, v61, v8
	;;#ASMEND
	;; [unrolled: 3-line block ×12, first 2 shown]
	ds_read_b128 v[1:4], v31 offset:64
	ds_read_b128 v[56:59], v26 offset:320
	;; [unrolled: 1-line block ×6, first 2 shown]
	s_waitcnt lgkmcnt(4)
	;;#ASMSTART
	v_dot2_f32_f16 v9, v1, v56, v9
	;;#ASMEND
	;;#ASMSTART
	v_dot2_f32_f16 v9, v2, v57, v9
	;;#ASMEND
	;;#ASMSTART
	v_dot2_f32_f16 v9, v3, v58, v9
	;;#ASMEND
	;;#ASMSTART
	v_dot2_f32_f16 v9, v4, v59, v9
	;;#ASMEND
	s_waitcnt lgkmcnt(3)
	;;#ASMSTART
	v_dot2_f32_f16 v7, v1, v60, v7
	;;#ASMEND
	;;#ASMSTART
	v_dot2_f32_f16 v7, v2, v61, v7
	;;#ASMEND
	;;#ASMSTART
	v_dot2_f32_f16 v7, v3, v62, v7
	;;#ASMEND
	;;#ASMSTART
	v_dot2_f32_f16 v7, v4, v63, v7
	;;#ASMEND
	;; [unrolled: 13-line block ×5, first 2 shown]
	;;#ASMSTART
	v_dot2_f32_f16 v8, v72, v60, v8
	;;#ASMEND
	;;#ASMSTART
	v_dot2_f32_f16 v8, v73, v61, v8
	;;#ASMEND
	;; [unrolled: 3-line block ×12, first 2 shown]
	ds_read_b128 v[1:4], v31 offset:80
	ds_read_b128 v[56:59], v26 offset:336
	;; [unrolled: 1-line block ×6, first 2 shown]
	s_waitcnt lgkmcnt(4)
	;;#ASMSTART
	v_dot2_f32_f16 v9, v1, v56, v9
	;;#ASMEND
	;;#ASMSTART
	v_dot2_f32_f16 v9, v2, v57, v9
	;;#ASMEND
	;;#ASMSTART
	v_dot2_f32_f16 v9, v3, v58, v9
	;;#ASMEND
	;;#ASMSTART
	v_dot2_f32_f16 v9, v4, v59, v9
	;;#ASMEND
	s_waitcnt lgkmcnt(3)
	;;#ASMSTART
	v_dot2_f32_f16 v7, v1, v60, v7
	;;#ASMEND
	;;#ASMSTART
	v_dot2_f32_f16 v7, v2, v61, v7
	;;#ASMEND
	;;#ASMSTART
	v_dot2_f32_f16 v7, v3, v62, v7
	;;#ASMEND
	;;#ASMSTART
	v_dot2_f32_f16 v7, v4, v63, v7
	;;#ASMEND
	;; [unrolled: 13-line block ×5, first 2 shown]
	;;#ASMSTART
	v_dot2_f32_f16 v8, v72, v60, v8
	;;#ASMEND
	;;#ASMSTART
	v_dot2_f32_f16 v8, v73, v61, v8
	;;#ASMEND
	;; [unrolled: 3-line block ×12, first 2 shown]
	ds_read_b128 v[1:4], v31 offset:96
	ds_read_b128 v[56:59], v26 offset:352
	;; [unrolled: 1-line block ×6, first 2 shown]
	s_waitcnt lgkmcnt(4)
	;;#ASMSTART
	v_dot2_f32_f16 v9, v1, v56, v9
	;;#ASMEND
	;;#ASMSTART
	v_dot2_f32_f16 v9, v2, v57, v9
	;;#ASMEND
	;;#ASMSTART
	v_dot2_f32_f16 v9, v3, v58, v9
	;;#ASMEND
	;;#ASMSTART
	v_dot2_f32_f16 v9, v4, v59, v9
	;;#ASMEND
	s_waitcnt lgkmcnt(3)
	;;#ASMSTART
	v_dot2_f32_f16 v7, v1, v60, v7
	;;#ASMEND
	;;#ASMSTART
	v_dot2_f32_f16 v7, v2, v61, v7
	;;#ASMEND
	;;#ASMSTART
	v_dot2_f32_f16 v7, v3, v62, v7
	;;#ASMEND
	;;#ASMSTART
	v_dot2_f32_f16 v7, v4, v63, v7
	;;#ASMEND
	;; [unrolled: 13-line block ×5, first 2 shown]
	;;#ASMSTART
	v_dot2_f32_f16 v8, v72, v60, v8
	;;#ASMEND
	;;#ASMSTART
	v_dot2_f32_f16 v8, v73, v61, v8
	;;#ASMEND
	;; [unrolled: 3-line block ×12, first 2 shown]
	ds_read_b128 v[1:4], v31 offset:112
	ds_read_b128 v[56:59], v26 offset:368
	;; [unrolled: 1-line block ×6, first 2 shown]
	s_waitcnt lgkmcnt(4)
	;;#ASMSTART
	v_dot2_f32_f16 v9, v1, v56, v9
	;;#ASMEND
	;;#ASMSTART
	v_dot2_f32_f16 v9, v2, v57, v9
	;;#ASMEND
	;;#ASMSTART
	v_dot2_f32_f16 v9, v3, v58, v9
	;;#ASMEND
	;;#ASMSTART
	v_dot2_f32_f16 v9, v4, v59, v9
	;;#ASMEND
	s_waitcnt lgkmcnt(3)
	;;#ASMSTART
	v_dot2_f32_f16 v7, v1, v60, v7
	;;#ASMEND
	;;#ASMSTART
	v_dot2_f32_f16 v7, v2, v61, v7
	;;#ASMEND
	;;#ASMSTART
	v_dot2_f32_f16 v7, v3, v62, v7
	;;#ASMEND
	;;#ASMSTART
	v_dot2_f32_f16 v7, v4, v63, v7
	;;#ASMEND
	;; [unrolled: 13-line block ×5, first 2 shown]
	;;#ASMSTART
	v_dot2_f32_f16 v8, v72, v60, v8
	;;#ASMEND
	;;#ASMSTART
	v_dot2_f32_f16 v8, v73, v61, v8
	;;#ASMEND
	;; [unrolled: 3-line block ×5, first 2 shown]
	v_cmp_ngt_f32_e64 s18, 0x3f200000, |v9|
	;;#ASMSTART
	v_dot2_f32_f16 v6, v73, v65, v6
	;;#ASMEND
	;;#ASMSTART
	v_dot2_f32_f16 v6, v74, v66, v6
	;;#ASMEND
	;;#ASMSTART
	v_dot2_f32_f16 v6, v75, v67, v6
	;;#ASMEND
	;;#ASMSTART
	v_dot2_f32_f16 v55, v72, v68, v55
	;;#ASMEND
	;;#ASMSTART
	v_dot2_f32_f16 v55, v73, v69, v55
	;;#ASMEND
	;;#ASMSTART
	v_dot2_f32_f16 v55, v74, v70, v55
	;;#ASMEND
	;;#ASMSTART
	v_dot2_f32_f16 v55, v75, v71, v55
	;;#ASMEND
                                        ; implicit-def: $vgpr3
	s_and_saveexec_b32 s19, s18
	s_xor_b32 s18, exec_lo, s19
	s_cbranch_execz .LBB21_19
; %bb.18:                               ;   in Loop: Header=BB21_17 Depth=1
	v_add_f32_e64 v1, |v9|, |v9|
	v_mul_f32_e32 v2, 0x3fb8aa3b, v1
	v_cmp_ngt_f32_e32 vcc_lo, 0xc2ce8ed0, v1
	v_rndne_f32_e32 v3, v2
	v_fma_f32 v4, 0x3fb8aa3b, v1, -v2
	v_sub_f32_e32 v2, v2, v3
	v_fmac_f32_e32 v4, 0x32a5705f, v1
	v_cvt_i32_f32_e32 v3, v3
	v_add_f32_e32 v2, v2, v4
	v_exp_f32_e32 v2, v2
	v_ldexp_f32 v2, v2, v3
	v_cndmask_b32_e32 v2, 0, v2, vcc_lo
	v_cmp_nlt_f32_e32 vcc_lo, 0x42b17218, v1
	v_cndmask_b32_e32 v1, 0x7f800000, v2, vcc_lo
	v_add_f32_e32 v1, 1.0, v1
	v_rcp_f32_e32 v1, v1
	v_fma_f32 v3, v1, -2.0, 1.0
.LBB21_19:                              ;   in Loop: Header=BB21_17 Depth=1
	s_andn2_saveexec_b32 s18, s18
	s_cbranch_execz .LBB21_21
; %bb.20:                               ;   in Loop: Header=BB21_17 Depth=1
	v_mul_f32_e32 v1, v9, v9
	v_fmaak_f32 v2, s15, v1, 0x3ca908c9
	v_fmaak_f32 v2, v1, v2, 0xbd5c1c4e
	;; [unrolled: 1-line block ×4, first 2 shown]
	v_mul_f32_e64 v2, |v9|, v2
	v_fma_f32 v3, v1, v2, |v9|
.LBB21_21:                              ;   in Loop: Header=BB21_17 Depth=1
	s_or_b32 exec_lo, exec_lo, s18
	v_add_nc_u32_e32 v1, s6, v14
	v_cmp_ngt_f32_e64 s18, 0x3f200000, |v10|
                                        ; implicit-def: $vgpr4
	v_ashrrev_i32_e32 v2, 31, v1
	v_lshlrev_b64 v[1:2], 1, v[1:2]
	v_add_co_u32 v1, vcc_lo, s34, v1
	v_add_co_ci_u32_e64 v2, null, s35, v2, vcc_lo
	global_load_ushort v11, v[1:2], off
	s_and_saveexec_b32 s19, s18
	s_xor_b32 s18, exec_lo, s19
	s_cbranch_execz .LBB21_23
; %bb.22:                               ;   in Loop: Header=BB21_17 Depth=1
	v_add_f32_e64 v4, |v10|, |v10|
	v_mul_f32_e32 v12, 0x3fb8aa3b, v4
	v_cmp_ngt_f32_e32 vcc_lo, 0xc2ce8ed0, v4
	v_rndne_f32_e32 v56, v12
	v_fma_f32 v57, 0x3fb8aa3b, v4, -v12
	v_sub_f32_e32 v12, v12, v56
	v_fmac_f32_e32 v57, 0x32a5705f, v4
	v_cvt_i32_f32_e32 v56, v56
	v_add_f32_e32 v12, v12, v57
	v_exp_f32_e32 v12, v12
	v_ldexp_f32 v12, v12, v56
	v_cndmask_b32_e32 v12, 0, v12, vcc_lo
	v_cmp_nlt_f32_e32 vcc_lo, 0x42b17218, v4
	v_cndmask_b32_e32 v4, 0x7f800000, v12, vcc_lo
	v_add_f32_e32 v4, 1.0, v4
	v_rcp_f32_e32 v4, v4
	v_fma_f32 v4, v4, -2.0, 1.0
.LBB21_23:                              ;   in Loop: Header=BB21_17 Depth=1
	s_andn2_saveexec_b32 s18, s18
	s_cbranch_execz .LBB21_25
; %bb.24:                               ;   in Loop: Header=BB21_17 Depth=1
	v_mul_f32_e32 v4, v10, v10
	v_fmaak_f32 v12, s15, v4, 0x3ca908c9
	v_fmaak_f32 v12, v4, v12, 0xbd5c1c4e
	v_fmaak_f32 v12, v4, v12, 0x3e088382
	v_fmaak_f32 v12, v4, v12, 0xbeaaaa99
	v_mul_f32_e64 v12, |v10|, v12
	v_fma_f32 v4, v4, v12, |v10|
.LBB21_25:                              ;   in Loop: Header=BB21_17 Depth=1
	s_or_b32 exec_lo, exec_lo, s18
	global_load_ushort v12, v[1:2], off offset:64
	v_bfi_b32 v1, 0x7fffffff, v3, v9
	v_bfi_b32 v2, 0x7fffffff, v4, v10
	v_xor_b32_e32 v60, 16, v27
	v_xor_b32_e32 v59, 8, v27
	;; [unrolled: 1-line block ×3, first 2 shown]
	s_waitcnt vmcnt(1)
	v_fma_mix_f32 v68, s10, v1, v11 op_sel_hi:[0,0,1]
	v_xor_b32_e32 v57, 2, v27
	v_cmp_gt_i32_e32 vcc_lo, 32, v60
	v_xor_b32_e32 v56, 1, v27
	v_cmp_ngt_f32_e64 s18, 0x3f200000, |v7|
                                        ; implicit-def: $vgpr9
	v_cndmask_b32_e32 v1, v27, v60, vcc_lo
	v_cmp_gt_i32_e32 vcc_lo, 32, v59
	v_lshlrev_b32_e32 v1, 2, v1
	v_cndmask_b32_e32 v4, v27, v59, vcc_lo
	v_cmp_gt_i32_e32 vcc_lo, 32, v58
	v_lshlrev_b32_e32 v67, 2, v4
	;; [unrolled: 3-line block ×4, first 2 shown]
	v_cndmask_b32_e32 v4, v27, v56, vcc_lo
	v_lshlrev_b32_e32 v4, 2, v4
	s_waitcnt vmcnt(0)
	v_fma_mix_f32 v69, s10, v2, v12 op_sel_hi:[0,0,1]
	v_add_f32_e32 v2, 0x40051340, v68
	v_add_f32_e32 v3, 0x40051340, v69
	v_max3_f32 v2, v51, v2, v3
	ds_bpermute_b32 v3, v1, v2
	s_waitcnt lgkmcnt(0)
	v_max_f32_e32 v3, v3, v3
	v_max_f32_e32 v2, v2, v3
	ds_bpermute_b32 v3, v67, v2
	s_waitcnt lgkmcnt(0)
	v_max_f32_e32 v3, v3, v3
	v_max_f32_e32 v2, v2, v3
	;; [unrolled: 4-line block ×4, first 2 shown]
	ds_bpermute_b32 v3, v4, v2
	s_and_saveexec_b32 s19, s18
	s_xor_b32 s18, exec_lo, s19
	s_cbranch_execz .LBB21_27
; %bb.26:                               ;   in Loop: Header=BB21_17 Depth=1
	v_add_f32_e64 v9, |v7|, |v7|
	v_mul_f32_e32 v10, 0x3fb8aa3b, v9
	v_cmp_ngt_f32_e32 vcc_lo, 0xc2ce8ed0, v9
	v_rndne_f32_e32 v61, v10
	v_fma_f32 v62, 0x3fb8aa3b, v9, -v10
	v_sub_f32_e32 v10, v10, v61
	v_fmac_f32_e32 v62, 0x32a5705f, v9
	v_cvt_i32_f32_e32 v61, v61
	v_add_f32_e32 v10, v10, v62
	v_exp_f32_e32 v10, v10
	v_ldexp_f32 v10, v10, v61
	v_cndmask_b32_e32 v10, 0, v10, vcc_lo
	v_cmp_nlt_f32_e32 vcc_lo, 0x42b17218, v9
	v_cndmask_b32_e32 v9, 0x7f800000, v10, vcc_lo
	v_add_f32_e32 v9, 1.0, v9
	v_rcp_f32_e32 v9, v9
	v_fma_f32 v9, v9, -2.0, 1.0
.LBB21_27:                              ;   in Loop: Header=BB21_17 Depth=1
	s_andn2_saveexec_b32 s18, s18
	s_cbranch_execz .LBB21_29
; %bb.28:                               ;   in Loop: Header=BB21_17 Depth=1
	v_mul_f32_e32 v9, v7, v7
	v_fmaak_f32 v10, s15, v9, 0x3ca908c9
	v_fmaak_f32 v10, v9, v10, 0xbd5c1c4e
	v_fmaak_f32 v10, v9, v10, 0x3e088382
	v_fmaak_f32 v10, v9, v10, 0xbeaaaa99
	v_mul_f32_e64 v10, |v7|, v10
	v_fma_f32 v9, v9, v10, |v7|
.LBB21_29:                              ;   in Loop: Header=BB21_17 Depth=1
	s_or_b32 exec_lo, exec_lo, s18
	v_cmp_ngt_f32_e64 s18, 0x3f200000, |v8|
                                        ; implicit-def: $vgpr10
	s_and_saveexec_b32 s19, s18
	s_xor_b32 s18, exec_lo, s19
	s_cbranch_execz .LBB21_31
; %bb.30:                               ;   in Loop: Header=BB21_17 Depth=1
	v_add_f32_e64 v10, |v8|, |v8|
	v_mul_f32_e32 v61, 0x3fb8aa3b, v10
	v_cmp_ngt_f32_e32 vcc_lo, 0xc2ce8ed0, v10
	v_rndne_f32_e32 v62, v61
	v_fma_f32 v65, 0x3fb8aa3b, v10, -v61
	v_sub_f32_e32 v61, v61, v62
	v_fmac_f32_e32 v65, 0x32a5705f, v10
	v_cvt_i32_f32_e32 v62, v62
	v_add_f32_e32 v61, v61, v65
	v_exp_f32_e32 v61, v61
	v_ldexp_f32 v61, v61, v62
	v_cndmask_b32_e32 v61, 0, v61, vcc_lo
	v_cmp_nlt_f32_e32 vcc_lo, 0x42b17218, v10
	v_cndmask_b32_e32 v10, 0x7f800000, v61, vcc_lo
	v_add_f32_e32 v10, 1.0, v10
	v_rcp_f32_e32 v10, v10
	v_fma_f32 v10, v10, -2.0, 1.0
.LBB21_31:                              ;   in Loop: Header=BB21_17 Depth=1
	s_andn2_saveexec_b32 s18, s18
	s_cbranch_execz .LBB21_33
; %bb.32:                               ;   in Loop: Header=BB21_17 Depth=1
	v_mul_f32_e32 v10, v8, v8
	v_fmaak_f32 v61, s15, v10, 0x3ca908c9
	v_fmaak_f32 v61, v10, v61, 0xbd5c1c4e
	v_fmaak_f32 v61, v10, v61, 0x3e088382
	v_fmaak_f32 v61, v10, v61, 0xbeaaaa99
	v_mul_f32_e64 v61, |v8|, v61
	v_fma_f32 v10, v10, v61, |v8|
.LBB21_33:                              ;   in Loop: Header=BB21_17 Depth=1
	s_or_b32 exec_lo, exec_lo, s18
	v_cvt_f32_f16_e32 v66, v11
	v_cvt_f32_f16_e32 v65, v12
	v_bfi_b32 v7, 0x7fffffff, v9, v7
	v_bfi_b32 v8, 0x7fffffff, v10, v8
	v_cmp_ngt_f32_e64 s18, 0x3f200000, |v5|
	v_fma_f32 v70, s10, v7, v66
	v_fma_f32 v71, s10, v8, v65
	v_add_f32_e32 v7, 0x40051340, v70
	v_add_f32_e32 v8, 0x40051340, v71
	v_max3_f32 v7, v53, v7, v8
	ds_bpermute_b32 v8, v1, v7
	s_waitcnt lgkmcnt(0)
	v_max_f32_e32 v8, v8, v8
	v_max_f32_e32 v7, v7, v8
	ds_bpermute_b32 v8, v67, v7
	s_waitcnt lgkmcnt(0)
	v_max_f32_e32 v8, v8, v8
	v_max_f32_e32 v7, v7, v8
	;; [unrolled: 4-line block ×4, first 2 shown]
                                        ; implicit-def: $vgpr7
	ds_bpermute_b32 v62, v4, v61
	s_and_saveexec_b32 s19, s18
	s_xor_b32 s18, exec_lo, s19
	s_cbranch_execz .LBB21_35
; %bb.34:                               ;   in Loop: Header=BB21_17 Depth=1
	v_add_f32_e64 v7, |v5|, |v5|
	v_mul_f32_e32 v8, 0x3fb8aa3b, v7
	v_cmp_ngt_f32_e32 vcc_lo, 0xc2ce8ed0, v7
	v_rndne_f32_e32 v9, v8
	v_fma_f32 v10, 0x3fb8aa3b, v7, -v8
	v_sub_f32_e32 v8, v8, v9
	v_fmac_f32_e32 v10, 0x32a5705f, v7
	v_cvt_i32_f32_e32 v9, v9
	v_add_f32_e32 v8, v8, v10
	v_exp_f32_e32 v8, v8
	v_ldexp_f32 v8, v8, v9
	v_cndmask_b32_e32 v8, 0, v8, vcc_lo
	v_cmp_nlt_f32_e32 vcc_lo, 0x42b17218, v7
	v_cndmask_b32_e32 v7, 0x7f800000, v8, vcc_lo
	v_add_f32_e32 v7, 1.0, v7
	v_rcp_f32_e32 v7, v7
	v_fma_f32 v7, v7, -2.0, 1.0
.LBB21_35:                              ;   in Loop: Header=BB21_17 Depth=1
	s_andn2_saveexec_b32 s18, s18
	s_cbranch_execz .LBB21_37
; %bb.36:                               ;   in Loop: Header=BB21_17 Depth=1
	v_mul_f32_e32 v7, v5, v5
	v_fmaak_f32 v8, s15, v7, 0x3ca908c9
	v_fmaak_f32 v8, v7, v8, 0xbd5c1c4e
	;; [unrolled: 1-line block ×4, first 2 shown]
	v_mul_f32_e64 v8, |v5|, v8
	v_fma_f32 v7, v7, v8, |v5|
.LBB21_37:                              ;   in Loop: Header=BB21_17 Depth=1
	s_or_b32 exec_lo, exec_lo, s18
	v_cmp_ngt_f32_e64 s18, 0x3f200000, |v6|
                                        ; implicit-def: $vgpr8
	s_and_saveexec_b32 s19, s18
	s_xor_b32 s18, exec_lo, s19
	s_cbranch_execz .LBB21_39
; %bb.38:                               ;   in Loop: Header=BB21_17 Depth=1
	v_add_f32_e64 v8, |v6|, |v6|
	v_mul_f32_e32 v9, 0x3fb8aa3b, v8
	v_cmp_ngt_f32_e32 vcc_lo, 0xc2ce8ed0, v8
	v_rndne_f32_e32 v10, v9
	v_fma_f32 v11, 0x3fb8aa3b, v8, -v9
	v_sub_f32_e32 v9, v9, v10
	v_fmac_f32_e32 v11, 0x32a5705f, v8
	v_cvt_i32_f32_e32 v10, v10
	v_add_f32_e32 v9, v9, v11
	v_exp_f32_e32 v9, v9
	v_ldexp_f32 v9, v9, v10
	v_cndmask_b32_e32 v9, 0, v9, vcc_lo
	v_cmp_nlt_f32_e32 vcc_lo, 0x42b17218, v8
	v_cndmask_b32_e32 v8, 0x7f800000, v9, vcc_lo
	v_add_f32_e32 v8, 1.0, v8
	v_rcp_f32_e32 v8, v8
	v_fma_f32 v8, v8, -2.0, 1.0
.LBB21_39:                              ;   in Loop: Header=BB21_17 Depth=1
	s_andn2_saveexec_b32 s18, s18
	s_cbranch_execz .LBB21_41
; %bb.40:                               ;   in Loop: Header=BB21_17 Depth=1
	v_mul_f32_e32 v8, v6, v6
	v_fmaak_f32 v9, s15, v8, 0x3ca908c9
	v_fmaak_f32 v9, v8, v9, 0xbd5c1c4e
	;; [unrolled: 1-line block ×4, first 2 shown]
	v_mul_f32_e64 v9, |v6|, v9
	v_fma_f32 v8, v8, v9, |v6|
.LBB21_41:                              ;   in Loop: Header=BB21_17 Depth=1
	s_or_b32 exec_lo, exec_lo, s18
	v_bfi_b32 v5, 0x7fffffff, v7, v5
	v_bfi_b32 v6, 0x7fffffff, v8, v6
	v_cmp_ngt_f32_e64 s18, 0x3f200000, |v54|
                                        ; implicit-def: $vgpr76
	v_fma_f32 v73, s10, v5, v66
	v_fma_f32 v72, s10, v6, v65
	v_add_f32_e32 v5, 0x40051340, v73
	v_add_f32_e32 v6, 0x40051340, v72
	v_max3_f32 v5, v52, v5, v6
	ds_bpermute_b32 v6, v1, v5
	s_waitcnt lgkmcnt(0)
	v_max_f32_e32 v6, v6, v6
	v_max_f32_e32 v5, v5, v6
	ds_bpermute_b32 v6, v67, v5
	s_waitcnt lgkmcnt(0)
	v_max_f32_e32 v6, v6, v6
	v_max_f32_e32 v5, v5, v6
	;; [unrolled: 4-line block ×4, first 2 shown]
	ds_bpermute_b32 v75, v4, v74
	s_and_saveexec_b32 s19, s18
	s_xor_b32 s18, exec_lo, s19
	s_cbranch_execz .LBB21_43
; %bb.42:                               ;   in Loop: Header=BB21_17 Depth=1
	v_add_f32_e64 v5, |v54|, |v54|
	v_mul_f32_e32 v6, 0x3fb8aa3b, v5
	v_cmp_ngt_f32_e32 vcc_lo, 0xc2ce8ed0, v5
	v_rndne_f32_e32 v7, v6
	v_fma_f32 v8, 0x3fb8aa3b, v5, -v6
	v_sub_f32_e32 v6, v6, v7
	v_fmac_f32_e32 v8, 0x32a5705f, v5
	v_cvt_i32_f32_e32 v7, v7
	v_add_f32_e32 v6, v6, v8
	v_exp_f32_e32 v6, v6
	v_ldexp_f32 v6, v6, v7
	v_cndmask_b32_e32 v6, 0, v6, vcc_lo
	v_cmp_nlt_f32_e32 vcc_lo, 0x42b17218, v5
	v_cndmask_b32_e32 v5, 0x7f800000, v6, vcc_lo
	v_add_f32_e32 v5, 1.0, v5
	v_rcp_f32_e32 v5, v5
	v_fma_f32 v76, v5, -2.0, 1.0
.LBB21_43:                              ;   in Loop: Header=BB21_17 Depth=1
	s_andn2_saveexec_b32 s18, s18
	s_cbranch_execz .LBB21_45
; %bb.44:                               ;   in Loop: Header=BB21_17 Depth=1
	v_mul_f32_e32 v5, v54, v54
	v_fmaak_f32 v6, s15, v5, 0x3ca908c9
	v_fmaak_f32 v6, v5, v6, 0xbd5c1c4e
	v_fmaak_f32 v6, v5, v6, 0x3e088382
	v_fmaak_f32 v6, v5, v6, 0xbeaaaa99
	v_mul_f32_e64 v6, |v54|, v6
	v_fma_f32 v76, v5, v6, |v54|
.LBB21_45:                              ;   in Loop: Header=BB21_17 Depth=1
	s_or_b32 exec_lo, exec_lo, s18
	v_cmp_ngt_f32_e64 s18, 0x3f200000, |v55|
                                        ; implicit-def: $vgpr77
	s_and_saveexec_b32 s19, s18
	s_xor_b32 s18, exec_lo, s19
	s_cbranch_execz .LBB21_47
; %bb.46:                               ;   in Loop: Header=BB21_17 Depth=1
	v_add_f32_e64 v5, |v55|, |v55|
	v_mul_f32_e32 v6, 0x3fb8aa3b, v5
	v_cmp_ngt_f32_e32 vcc_lo, 0xc2ce8ed0, v5
	v_rndne_f32_e32 v7, v6
	v_fma_f32 v8, 0x3fb8aa3b, v5, -v6
	v_sub_f32_e32 v6, v6, v7
	v_fmac_f32_e32 v8, 0x32a5705f, v5
	v_cvt_i32_f32_e32 v7, v7
	v_add_f32_e32 v6, v6, v8
	v_exp_f32_e32 v6, v6
	v_ldexp_f32 v6, v6, v7
	v_cndmask_b32_e32 v6, 0, v6, vcc_lo
	v_cmp_nlt_f32_e32 vcc_lo, 0x42b17218, v5
	v_cndmask_b32_e32 v5, 0x7f800000, v6, vcc_lo
	v_add_f32_e32 v5, 1.0, v5
	v_rcp_f32_e32 v5, v5
	v_fma_f32 v77, v5, -2.0, 1.0
.LBB21_47:                              ;   in Loop: Header=BB21_17 Depth=1
	s_andn2_saveexec_b32 s18, s18
	s_cbranch_execz .LBB21_49
; %bb.48:                               ;   in Loop: Header=BB21_17 Depth=1
	v_mul_f32_e32 v5, v55, v55
	v_fmaak_f32 v6, s15, v5, 0x3ca908c9
	v_fmaak_f32 v6, v5, v6, 0xbd5c1c4e
	;; [unrolled: 1-line block ×4, first 2 shown]
	v_mul_f32_e64 v6, |v55|, v6
	v_fma_f32 v77, v5, v6, |v55|
.LBB21_49:                              ;   in Loop: Header=BB21_17 Depth=1
	s_or_b32 exec_lo, exec_lo, s18
	s_mul_hi_i32 s19, s6, s8
	s_mul_i32 s18, s6, s8
	s_waitcnt lgkmcnt(0)
	s_lshl_b64 s[18:19], s[18:19], 2
	s_barrier
	s_add_u32 s18, s12, s18
	s_addc_u32 s19, s13, s19
	v_add_co_u32 v5, vcc_lo, s18, v19
	v_add_co_ci_u32_e64 v6, null, s19, v20, vcc_lo
	v_add_co_u32 v7, vcc_lo, s18, v21
	v_add_co_ci_u32_e64 v8, null, s19, v22, vcc_lo
	;; [unrolled: 2-line block ×4, first 2 shown]
	buffer_gl0_inv
	s_clause 0x1
	global_load_dwordx4 v[5:8], v[5:6], off
	global_load_dwordx4 v[9:12], v[9:10], off
	v_bfi_b32 v54, 0x7fffffff, v76, v54
	v_bfi_b32 v55, 0x7fffffff, v77, v55
	v_max_f32_e32 v3, v3, v3
	v_max_f32_e32 v2, v2, v2
	;; [unrolled: 1-line block ×3, first 2 shown]
	v_fmac_f32_e32 v66, s10, v54
	v_fmac_f32_e32 v65, s10, v55
	v_max_f32_e32 v76, v74, v74
	v_max_f32_e32 v77, v62, v62
	;; [unrolled: 1-line block ×3, first 2 shown]
	v_add_f32_e32 v54, 0x40051340, v66
	v_add_f32_e32 v55, 0x40051340, v65
	v_add_nc_u32_e32 v74, v32, v25
	v_add_nc_u32_e32 v61, 0x3000, v25
	;; [unrolled: 1-line block ×3, first 2 shown]
	s_or_b32 s18, s6, 32
	v_max3_f32 v54, v50, v54, v55
	s_mul_hi_i32 s19, s18, s8
	s_mul_i32 s18, s18, s8
	s_lshl_b64 s[18:19], s[18:19], 2
	ds_bpermute_b32 v55, v1, v54
	v_max_f32_e32 v1, v2, v3
	v_max_f32_e32 v3, v76, v75
	;; [unrolled: 1-line block ×3, first 2 shown]
	s_add_u32 s18, s12, s18
	s_addc_u32 s19, s13, s19
	v_sub_f32_e32 v68, v68, v1
	v_sub_f32_e32 v69, v69, v1
	v_sub_f32_e32 v51, v51, v1
	v_sub_f32_e32 v70, v70, v2
	v_sub_f32_e32 v71, v71, v2
	v_mul_f32_e32 v75, 0x3fb8aa3b, v68
	v_mul_f32_e32 v76, 0x3fb8aa3b, v69
	;; [unrolled: 1-line block ×4, first 2 shown]
	v_sub_f32_e32 v53, v53, v2
	v_fma_f32 v83, 0x3fb8aa3b, v68, -v75
	v_rndne_f32_e32 v84, v75
	v_fma_f32 v85, 0x3fb8aa3b, v69, -v76
	v_rndne_f32_e32 v86, v76
	s_waitcnt lgkmcnt(0)
	v_max_f32_e32 v55, v55, v55
	v_fmac_f32_e32 v83, 0x32a5705f, v68
	v_sub_f32_e32 v75, v75, v84
	v_fma_f32 v87, 0x3fb8aa3b, v51, -v77
	v_rndne_f32_e32 v88, v77
	v_max_f32_e32 v54, v54, v55
	v_fmac_f32_e32 v85, 0x32a5705f, v69
	v_add_f32_e32 v75, v75, v83
	v_mul_f32_e32 v55, 0x3fb8aa3b, v71
	v_fma_f32 v89, 0x3fb8aa3b, v70, -v78
	ds_bpermute_b32 v67, v67, v54
	v_rndne_f32_e32 v90, v78
	v_fmac_f32_e32 v87, 0x32a5705f, v51
	v_sub_f32_e32 v77, v77, v88
	v_exp_f32_e32 v75, v75
	v_sub_f32_e32 v73, v73, v3
	v_mul_f32_e32 v79, 0x3fb8aa3b, v53
	v_fma_f32 v91, 0x3fb8aa3b, v71, -v55
	v_rndne_f32_e32 v92, v55
	v_cvt_i32_f32_e32 v84, v84
	v_fmac_f32_e32 v89, 0x32a5705f, v70
	v_sub_f32_e32 v78, v78, v90
	v_add_f32_e32 v77, v77, v87
	v_sub_f32_e32 v72, v72, v3
	v_mul_f32_e32 v80, 0x3fb8aa3b, v73
	v_fma_f32 v93, 0x3fb8aa3b, v53, -v79
	v_rndne_f32_e32 v94, v79
	v_fmac_f32_e32 v91, 0x32a5705f, v71
	v_sub_f32_e32 v55, v55, v92
	v_add_f32_e32 v78, v78, v89
	s_waitcnt lgkmcnt(0)
	v_max_f32_e32 v67, v67, v67
	v_exp_f32_e32 v77, v77
	v_ldexp_f32 v75, v75, v84
	v_cmp_ngt_f32_e32 vcc_lo, 0xc2ce8ed0, v68
	v_sub_f32_e32 v52, v52, v3
	v_max_f32_e32 v54, v54, v67
	v_sub_f32_e32 v67, v76, v86
	v_cvt_i32_f32_e32 v76, v86
	v_mul_f32_e32 v81, 0x3fb8aa3b, v72
	v_fma_f32 v95, 0x3fb8aa3b, v73, -v80
	ds_bpermute_b32 v64, v64, v54
	v_add_f32_e32 v67, v67, v85
	v_rndne_f32_e32 v96, v80
	v_cvt_i32_f32_e32 v86, v88
	v_fmac_f32_e32 v93, 0x32a5705f, v53
	v_sub_f32_e32 v79, v79, v94
	v_exp_f32_e32 v67, v67
	v_add_f32_e32 v55, v55, v91
	v_exp_f32_e32 v78, v78
	v_cndmask_b32_e32 v75, 0, v75, vcc_lo
	v_cmp_ngt_f32_e32 vcc_lo, 0xc2ce8ed0, v69
	v_mul_f32_e32 v82, 0x3fb8aa3b, v52
	v_fma_f32 v97, 0x3fb8aa3b, v72, -v81
	v_rndne_f32_e32 v98, v81
	v_cvt_i32_f32_e32 v88, v90
	v_fmac_f32_e32 v95, 0x32a5705f, v73
	v_ldexp_f32 v67, v67, v76
	v_sub_f32_e32 v80, v80, v96
	v_exp_f32_e32 v55, v55
	v_ldexp_f32 v76, v77, v86
	s_waitcnt lgkmcnt(0)
	v_max_f32_e32 v64, v64, v64
	v_cndmask_b32_e32 v67, 0, v67, vcc_lo
	v_cmp_ngt_f32_e32 vcc_lo, 0xc2ce8ed0, v51
	v_fma_f32 v99, 0x3fb8aa3b, v52, -v82
	v_rndne_f32_e32 v100, v82
	v_max_f32_e32 v54, v54, v64
	v_add_f32_e32 v64, v79, v93
	v_cvt_i32_f32_e32 v90, v92
	v_fmac_f32_e32 v97, 0x32a5705f, v72
	v_sub_f32_e32 v81, v81, v98
	ds_bpermute_b32 v63, v63, v54
	v_add_f32_e32 v79, v80, v95
	v_exp_f32_e32 v64, v64
	v_ldexp_f32 v77, v78, v88
	v_cvt_i32_f32_e32 v92, v94
	v_fmac_f32_e32 v99, 0x32a5705f, v52
	v_sub_f32_e32 v82, v82, v100
	v_add_f32_e32 v80, v81, v97
	v_exp_f32_e32 v79, v79
	v_ldexp_f32 v55, v55, v90
	v_cvt_i32_f32_e32 v94, v96
	v_add_f32_e32 v81, v82, v99
	v_exp_f32_e32 v80, v80
	v_ldexp_f32 v64, v64, v92
	v_cvt_i32_f32_e32 v96, v98
	v_cvt_i32_f32_e32 v82, v100
	v_exp_f32_e32 v81, v81
	v_ldexp_f32 v78, v79, v94
	s_waitcnt lgkmcnt(0)
	v_max_f32_e32 v63, v63, v63
	v_ldexp_f32 v79, v80, v96
	v_max_f32_e32 v54, v54, v63
	v_cndmask_b32_e32 v63, 0, v76, vcc_lo
	v_cmp_ngt_f32_e32 vcc_lo, 0xc2ce8ed0, v70
	v_ldexp_f32 v80, v81, v82
	ds_bpermute_b32 v4, v4, v54
	v_cndmask_b32_e32 v76, 0, v77, vcc_lo
	v_cmp_ngt_f32_e32 vcc_lo, 0xc2ce8ed0, v71
	v_cndmask_b32_e32 v55, 0, v55, vcc_lo
	v_cmp_ngt_f32_e32 vcc_lo, 0xc2ce8ed0, v53
	;; [unrolled: 2-line block ×4, first 2 shown]
	s_waitcnt lgkmcnt(0)
	v_max_f32_e32 v4, v4, v4
	v_cndmask_b32_e32 v78, 0, v79, vcc_lo
	v_cmp_ngt_f32_e32 vcc_lo, 0xc2ce8ed0, v52
	v_max_f32_e32 v4, v54, v4
	v_cndmask_b32_e32 v79, 0, v80, vcc_lo
	v_cmp_nlt_f32_e32 vcc_lo, 0x42b17218, v68
	v_sub_f32_e32 v65, v65, v4
	v_cndmask_b32_e32 v68, 0x7f800000, v75, vcc_lo
	v_cmp_nlt_f32_e32 vcc_lo, 0x42b17218, v69
	v_cndmask_b32_e32 v67, 0x7f800000, v67, vcc_lo
	v_cmp_nlt_f32_e32 vcc_lo, 0x42b17218, v51
	v_add_f32_e32 v54, v68, v67
	v_cndmask_b32_e32 v75, 0x7f800000, v63, vcc_lo
	v_cmp_nlt_f32_e32 vcc_lo, 0x42b17218, v70
	v_sub_f32_e32 v70, v50, v4
	v_cvt_f16_f32_e32 v67, v67
	v_fmac_f32_e32 v54, v49, v75
	v_cndmask_b32_e32 v69, 0x7f800000, v76, vcc_lo
	v_cmp_nlt_f32_e32 vcc_lo, 0x42b17218, v71
	v_cvt_f16_f32_e32 v71, v75
	v_cvt_f16_f32_e32 v81, v69
	v_cndmask_b32_e32 v55, 0x7f800000, v55, vcc_lo
	v_cmp_nlt_f32_e32 vcc_lo, 0x42b17218, v53
	v_mul_u32_u24_sdwa v110, v71, v37 dst_sel:DWORD dst_unused:UNUSED_PAD src0_sel:WORD_0 src1_sel:DWORD
	v_cndmask_b32_e32 v63, 0x7f800000, v64, vcc_lo
	v_sub_f32_e32 v64, v66, v4
	v_cmp_nlt_f32_e32 vcc_lo, 0x42b17218, v73
	v_cvt_f16_f32_e32 v66, v68
	v_mul_f32_e32 v68, 0x3fb8aa3b, v65
	v_pk_mul_f16 v48, v48, v110
	v_mul_f32_e32 v50, 0x3fb8aa3b, v64
	v_cndmask_b32_e32 v51, 0x7f800000, v77, vcc_lo
	v_cmp_nlt_f32_e32 vcc_lo, 0x42b17218, v72
	v_fma_f32 v77, 0x3fb8aa3b, v65, -v68
	v_mul_f32_e32 v72, 0x3fb8aa3b, v70
	v_fma_f32 v73, 0x3fb8aa3b, v64, -v50
	v_rndne_f32_e32 v76, v50
	v_cndmask_b32_e32 v53, 0x7f800000, v78, vcc_lo
	v_rndne_f32_e32 v78, v68
	v_fmac_f32_e32 v77, 0x32a5705f, v65
	v_fmac_f32_e32 v73, 0x32a5705f, v64
	v_sub_f32_e32 v50, v50, v76
	v_cmp_nlt_f32_e32 vcc_lo, 0x42b17218, v52
	v_sub_f32_e32 v68, v68, v78
	v_rndne_f32_e32 v80, v72
	v_cvt_i32_f32_e32 v76, v76
	v_add_f32_e32 v50, v50, v73
	v_cndmask_b32_e32 v52, 0x7f800000, v79, vcc_lo
	v_add_f32_e32 v68, v68, v77
	v_fma_f32 v79, 0x3fb8aa3b, v70, -v72
	v_sub_f32_e32 v72, v72, v80
	v_exp_f32_e32 v50, v50
	v_cvt_f16_f32_e32 v73, v55
	v_exp_f32_e32 v68, v68
	v_fmac_f32_e32 v79, 0x32a5705f, v70
	v_add_f32_e32 v55, v69, v55
	v_cvt_i32_f32_e32 v69, v78
	v_cmp_ngt_f32_e32 vcc_lo, 0xc2ce8ed0, v64
	v_cvt_f16_f32_e32 v77, v51
	v_add_f32_e32 v72, v72, v79
	v_cvt_f16_f32_e32 v79, v53
	v_ldexp_f32 v50, v50, v76
	v_pack_b32_f16 v66, v66, v81
	v_ldexp_f32 v68, v68, v69
	v_exp_f32_e32 v72, v72
	v_cvt_i32_f32_e32 v69, v80
	v_cndmask_b32_e32 v50, 0, v50, vcc_lo
	v_cmp_ngt_f32_e32 vcc_lo, 0xc2ce8ed0, v65
	v_cvt_f16_f32_e32 v78, v63
	v_cvt_f16_f32_e32 v76, v52
	v_fmac_f32_e32 v55, v46, v63
	v_cndmask_b32_e32 v68, 0, v68, vcc_lo
	v_cmp_nlt_f32_e32 vcc_lo, 0x42b17218, v64
	v_ldexp_f32 v69, v72, v69
	v_mul_u32_u24_sdwa v111, v78, v37 dst_sel:DWORD dst_unused:UNUSED_PAD src0_sel:WORD_0 src1_sel:DWORD
	v_mul_u32_u24_sdwa v112, v76, v37 dst_sel:DWORD dst_unused:UNUSED_PAD src0_sel:WORD_0 src1_sel:DWORD
	v_cndmask_b32_e32 v50, 0x7f800000, v50, vcc_lo
	v_cmp_nlt_f32_e32 vcc_lo, 0x42b17218, v65
	v_pk_mul_f16 v47, v47, v111
	v_pk_mul_f16 v45, v45, v112
	v_cndmask_b32_e32 v64, 0x7f800000, v68, vcc_lo
	v_cmp_ngt_f32_e32 vcc_lo, 0xc2ce8ed0, v70
	v_pack_b32_f16 v68, v67, v73
	v_cvt_f16_f32_e32 v72, v64
	v_cndmask_b32_e32 v65, 0, v69, vcc_lo
	v_cvt_f16_f32_e32 v69, v50
	v_cmp_nlt_f32_e32 vcc_lo, 0x42b17218, v70
	v_pack_b32_f16 v67, v77, v69
	v_pack_b32_f16 v69, v79, v72
	v_cndmask_b32_e32 v65, 0x7f800000, v65, vcc_lo
	ds_write2_b64 v74, v[66:67], v[68:69] offset1:32
	s_waitcnt vmcnt(1)
	ds_write_b128 v33, v[5:8]
	s_waitcnt vmcnt(0)
	ds_write_b128 v34, v[9:12]
	s_waitcnt lgkmcnt(0)
	s_barrier
	buffer_gl0_inv
	ds_read_b128 v[9:12], v32
	v_cvt_f16_f32_e32 v70, v65
	v_mul_u32_u24_sdwa v5, v70, v37 dst_sel:DWORD dst_unused:UNUSED_PAD src0_sel:WORD_0 src1_sel:DWORD
	v_pk_mul_f16 v42, v42, v5
	v_pk_mul_f16 v41, v41, v5
	ds_read_b128 v[66:69], v32 offset:16
	ds_read2_b64 v[70:73], v61 offset1:32
	ds_read_b128 v[74:77], v32 offset:32
	ds_read_b128 v[78:81], v32 offset:48
	;; [unrolled: 1-line block ×4, first 2 shown]
	ds_read2_b64 v[90:93], v61 offset0:64 offset1:96
	ds_read2_b64 v[94:97], v61 offset0:128 offset1:160
	ds_read2_b64 v[98:101], v61 offset0:192 offset1:224
	ds_read2_b64 v[102:105], v62 offset1:32
	ds_read2_b64 v[106:109], v62 offset0:64 offset1:96
	ds_read2_b64 v[5:8], v62 offset0:128 offset1:160
	s_waitcnt lgkmcnt(12)
	v_mul_u32_u24_sdwa v49, v9, v37 dst_sel:DWORD dst_unused:UNUSED_PAD src0_sel:WORD_0 src1_sel:DWORD
	v_mul_u32_u24_sdwa v113, v9, v37 dst_sel:DWORD dst_unused:UNUSED_PAD src0_sel:WORD_1 src1_sel:DWORD
	v_mul_u32_u24_sdwa v114, v10, v37 dst_sel:DWORD dst_unused:UNUSED_PAD src0_sel:WORD_0 src1_sel:DWORD
	v_mul_u32_u24_sdwa v115, v10, v37 dst_sel:DWORD dst_unused:UNUSED_PAD src0_sel:WORD_1 src1_sel:DWORD
	v_mul_u32_u24_sdwa v116, v11, v37 dst_sel:DWORD dst_unused:UNUSED_PAD src0_sel:WORD_0 src1_sel:DWORD
	s_waitcnt lgkmcnt(10)
	v_pk_fma_f16 v48, v71, v49, v48
	v_pk_mul_f16 v49, v70, v49
	v_pk_fma_f16 v47, v71, v113, v47
	v_pk_mul_f16 v113, v70, v113
	;; [unrolled: 2-line block ×3, first 2 shown]
	v_mul_u32_u24_sdwa v117, v11, v37 dst_sel:DWORD dst_unused:UNUSED_PAD src0_sel:WORD_1 src1_sel:DWORD
	v_mul_u32_u24_sdwa v118, v12, v37 dst_sel:DWORD dst_unused:UNUSED_PAD src0_sel:WORD_0 src1_sel:DWORD
	v_mul_u32_u24_sdwa v119, v12, v37 dst_sel:DWORD dst_unused:UNUSED_PAD src0_sel:WORD_1 src1_sel:DWORD
	v_pk_fma_f16 v40, v40, v110, v49
	v_pk_fma_f16 v39, v39, v111, v113
	v_pk_fma_f16 v38, v38, v112, v70
	v_pk_fma_f16 v41, v71, v115, v41
	v_pk_fma_f16 v45, v71, v114, v45
	v_mul_u32_u24_sdwa v120, v66, v37 dst_sel:DWORD dst_unused:UNUSED_PAD src0_sel:WORD_0 src1_sel:DWORD
	v_mul_u32_u24_sdwa v121, v66, v37 dst_sel:DWORD dst_unused:UNUSED_PAD src0_sel:WORD_1 src1_sel:DWORD
	v_mul_u32_u24_sdwa v122, v67, v37 dst_sel:DWORD dst_unused:UNUSED_PAD src0_sel:WORD_0 src1_sel:DWORD
	v_mul_u32_u24_sdwa v123, v67, v37 dst_sel:DWORD dst_unused:UNUSED_PAD src0_sel:WORD_1 src1_sel:DWORD
	v_pk_fma_f16 v42, v72, v119, v42
	v_pk_fma_f16 v48, v73, v116, v48
	v_pk_fma_f16 v47, v73, v117, v47
	v_pk_fma_f16 v40, v72, v116, v40
	v_pk_fma_f16 v39, v72, v117, v39
	v_pk_fma_f16 v38, v72, v118, v38
	v_pk_fma_f16 v41, v73, v119, v41
	v_pk_fma_f16 v45, v73, v118, v45
	v_mul_u32_u24_sdwa v124, v68, v37 dst_sel:DWORD dst_unused:UNUSED_PAD src0_sel:WORD_0 src1_sel:DWORD
	v_mul_u32_u24_sdwa v125, v68, v37 dst_sel:DWORD dst_unused:UNUSED_PAD src0_sel:WORD_1 src1_sel:DWORD
	v_mul_u32_u24_sdwa v126, v69, v37 dst_sel:DWORD dst_unused:UNUSED_PAD src0_sel:WORD_0 src1_sel:DWORD
	v_mul_u32_u24_sdwa v127, v69, v37 dst_sel:DWORD dst_unused:UNUSED_PAD src0_sel:WORD_1 src1_sel:DWORD
	s_waitcnt lgkmcnt(5)
	v_pk_fma_f16 v42, v90, v123, v42
	v_pk_fma_f16 v48, v91, v120, v48
	v_pk_fma_f16 v47, v91, v121, v47
	v_pk_fma_f16 v40, v90, v120, v40
	v_pk_fma_f16 v39, v90, v121, v39
	v_pk_fma_f16 v38, v90, v122, v38
	v_pk_fma_f16 v41, v91, v123, v41
	v_pk_fma_f16 v45, v91, v122, v45
	v_mul_u32_u24_sdwa v128, v74, v37 dst_sel:DWORD dst_unused:UNUSED_PAD src0_sel:WORD_0 src1_sel:DWORD
	v_mul_u32_u24_sdwa v74, v74, v37 dst_sel:DWORD dst_unused:UNUSED_PAD src0_sel:WORD_1 src1_sel:DWORD
	v_mul_u32_u24_sdwa v129, v75, v37 dst_sel:DWORD dst_unused:UNUSED_PAD src0_sel:WORD_0 src1_sel:DWORD
	v_mul_u32_u24_sdwa v75, v75, v37 dst_sel:DWORD dst_unused:UNUSED_PAD src0_sel:WORD_1 src1_sel:DWORD
	v_pk_fma_f16 v42, v92, v127, v42
	v_pk_fma_f16 v48, v93, v124, v48
	v_pk_fma_f16 v47, v93, v125, v47
	v_pk_fma_f16 v40, v92, v124, v40
	v_pk_fma_f16 v39, v92, v125, v39
	v_pk_fma_f16 v38, v92, v126, v38
	v_pk_fma_f16 v41, v93, v127, v41
	v_pk_fma_f16 v45, v93, v126, v45
	v_mul_u32_u24_sdwa v130, v76, v37 dst_sel:DWORD dst_unused:UNUSED_PAD src0_sel:WORD_0 src1_sel:DWORD
	v_mul_u32_u24_sdwa v76, v76, v37 dst_sel:DWORD dst_unused:UNUSED_PAD src0_sel:WORD_1 src1_sel:DWORD
	v_mul_u32_u24_sdwa v131, v77, v37 dst_sel:DWORD dst_unused:UNUSED_PAD src0_sel:WORD_0 src1_sel:DWORD
	v_mul_u32_u24_sdwa v77, v77, v37 dst_sel:DWORD dst_unused:UNUSED_PAD src0_sel:WORD_1 src1_sel:DWORD
	s_waitcnt lgkmcnt(4)
	v_pk_fma_f16 v42, v94, v75, v42
	v_pk_fma_f16 v48, v95, v128, v48
	v_pk_fma_f16 v47, v95, v74, v47
	;; [unrolled: 25-line block ×3, first 2 shown]
	v_pk_fma_f16 v40, v98, v132, v40
	v_pk_fma_f16 v39, v98, v78, v39
	;; [unrolled: 1-line block ×5, first 2 shown]
	v_mul_u32_u24_sdwa v136, v82, v37 dst_sel:DWORD dst_unused:UNUSED_PAD src0_sel:WORD_0 src1_sel:DWORD
	v_mul_u32_u24_sdwa v82, v82, v37 dst_sel:DWORD dst_unused:UNUSED_PAD src0_sel:WORD_1 src1_sel:DWORD
	v_mul_u32_u24_sdwa v137, v83, v37 dst_sel:DWORD dst_unused:UNUSED_PAD src0_sel:WORD_0 src1_sel:DWORD
	v_mul_u32_u24_sdwa v83, v83, v37 dst_sel:DWORD dst_unused:UNUSED_PAD src0_sel:WORD_1 src1_sel:DWORD
	v_pk_fma_f16 v42, v100, v81, v42
	v_pk_fma_f16 v48, v101, v134, v48
	;; [unrolled: 1-line block ×6, first 2 shown]
	ds_read_b128 v[9:12], v32 offset:96
	ds_read_b128 v[66:69], v32 offset:112
	v_pk_fma_f16 v45, v101, v135, v45
	v_pk_fma_f16 v41, v101, v81, v41
	v_mul_u32_u24_sdwa v138, v84, v37 dst_sel:DWORD dst_unused:UNUSED_PAD src0_sel:WORD_0 src1_sel:DWORD
	v_mul_u32_u24_sdwa v84, v84, v37 dst_sel:DWORD dst_unused:UNUSED_PAD src0_sel:WORD_1 src1_sel:DWORD
	v_mul_u32_u24_sdwa v139, v85, v37 dst_sel:DWORD dst_unused:UNUSED_PAD src0_sel:WORD_0 src1_sel:DWORD
	v_mul_u32_u24_sdwa v85, v85, v37 dst_sel:DWORD dst_unused:UNUSED_PAD src0_sel:WORD_1 src1_sel:DWORD
	s_waitcnt lgkmcnt(4)
	v_pk_fma_f16 v42, v102, v83, v42
	v_pk_fma_f16 v48, v103, v136, v48
	;; [unrolled: 1-line block ×8, first 2 shown]
	v_mul_u32_u24_sdwa v140, v86, v37 dst_sel:DWORD dst_unused:UNUSED_PAD src0_sel:WORD_0 src1_sel:DWORD
	v_mul_u32_u24_sdwa v86, v86, v37 dst_sel:DWORD dst_unused:UNUSED_PAD src0_sel:WORD_1 src1_sel:DWORD
	v_mul_u32_u24_sdwa v141, v87, v37 dst_sel:DWORD dst_unused:UNUSED_PAD src0_sel:WORD_0 src1_sel:DWORD
	v_mul_u32_u24_sdwa v87, v87, v37 dst_sel:DWORD dst_unused:UNUSED_PAD src0_sel:WORD_1 src1_sel:DWORD
	v_pk_fma_f16 v42, v104, v85, v42
	v_pk_fma_f16 v48, v105, v138, v48
	v_pk_fma_f16 v47, v105, v84, v47
	v_pk_fma_f16 v40, v104, v138, v40
	v_pk_fma_f16 v39, v104, v84, v39
	v_pk_fma_f16 v38, v104, v139, v38
	v_pk_fma_f16 v45, v105, v139, v45
	v_pk_fma_f16 v41, v105, v85, v41
	v_mul_u32_u24_sdwa v142, v88, v37 dst_sel:DWORD dst_unused:UNUSED_PAD src0_sel:WORD_0 src1_sel:DWORD
	v_mul_u32_u24_sdwa v88, v88, v37 dst_sel:DWORD dst_unused:UNUSED_PAD src0_sel:WORD_1 src1_sel:DWORD
	v_mul_u32_u24_sdwa v143, v89, v37 dst_sel:DWORD dst_unused:UNUSED_PAD src0_sel:WORD_0 src1_sel:DWORD
	v_mul_u32_u24_sdwa v89, v89, v37 dst_sel:DWORD dst_unused:UNUSED_PAD src0_sel:WORD_1 src1_sel:DWORD
	s_waitcnt lgkmcnt(3)
	v_pk_fma_f16 v42, v106, v87, v42
	v_pk_fma_f16 v48, v107, v140, v48
	;; [unrolled: 1-line block ×14, first 2 shown]
	s_waitcnt lgkmcnt(1)
	v_mul_u32_u24_sdwa v49, v9, v37 dst_sel:DWORD dst_unused:UNUSED_PAD src0_sel:WORD_0 src1_sel:DWORD
	v_mul_u32_u24_sdwa v9, v9, v37 dst_sel:DWORD dst_unused:UNUSED_PAD src0_sel:WORD_1 src1_sel:DWORD
	v_mul_u32_u24_sdwa v70, v10, v37 dst_sel:DWORD dst_unused:UNUSED_PAD src0_sel:WORD_0 src1_sel:DWORD
	v_mul_u32_u24_sdwa v10, v10, v37 dst_sel:DWORD dst_unused:UNUSED_PAD src0_sel:WORD_1 src1_sel:DWORD
	v_pk_fma_f16 v45, v109, v143, v45
	v_pk_fma_f16 v71, v109, v89, v41
	;; [unrolled: 1-line block ×8, first 2 shown]
	v_mul_u32_u24_sdwa v48, v11, v37 dst_sel:DWORD dst_unused:UNUSED_PAD src0_sel:WORD_0 src1_sel:DWORD
	v_mul_u32_u24_sdwa v11, v11, v37 dst_sel:DWORD dst_unused:UNUSED_PAD src0_sel:WORD_1 src1_sel:DWORD
	v_pk_fma_f16 v45, v6, v70, v45
	v_pk_fma_f16 v6, v6, v10, v71
	v_add_co_u32 v10, vcc_lo, s18, v19
	v_pk_fma_f16 v144, v7, v11, v73
	v_pk_fma_f16 v146, v8, v11, v47
	v_add_co_ci_u32_e64 v11, null, s19, v20, vcc_lo
	v_add_co_u32 v47, vcc_lo, s18, v21
	v_pk_fma_f16 v143, v7, v48, v72
	v_pk_fma_f16 v145, v8, v48, v5
	v_add_co_ci_u32_e64 v48, null, s19, v22, vcc_lo
	v_add_co_u32 v10, vcc_lo, v10, v36
	v_add_co_ci_u32_e64 v11, null, 0, v11, vcc_lo
	v_add_co_u32 v47, vcc_lo, v47, v36
	v_add_nc_u32_e32 v9, 0x4000, v25
	v_add_nc_u32_e32 v5, 0x4800, v25
	v_add_co_ci_u32_e64 v48, null, 0, v48, vcc_lo
	ds_read2_b64 v[38:41], v62 offset0:192 offset1:224
	ds_read2_b64 v[70:73], v9 offset1:32
	ds_read_b128 v[74:77], v32 offset:128
	ds_read_b128 v[78:81], v32 offset:144
	ds_read2_b64 v[82:85], v9 offset0:64 offset1:96
	ds_read2_b64 v[86:89], v9 offset0:128 offset1:160
	;; [unrolled: 1-line block ×3, first 2 shown]
	ds_read_b128 v[94:97], v32 offset:160
	ds_read_b128 v[98:101], v32 offset:176
	ds_read2_b64 v[102:105], v5 offset1:32
	ds_read2_b64 v[106:109], v5 offset0:64 offset1:96
	ds_read_b128 v[110:113], v32 offset:192
	ds_read_b128 v[114:117], v32 offset:208
	ds_read2_b64 v[118:121], v5 offset0:128 offset1:160
	ds_read2_b64 v[122:125], v5 offset0:192 offset1:224
	ds_read_b128 v[126:129], v32 offset:224
	ds_read_b128 v[130:133], v32 offset:240
	s_waitcnt lgkmcnt(0)
	s_barrier
	buffer_gl0_inv
	s_clause 0x1
	global_load_dwordx4 v[134:137], v[10:11], off
	global_load_dwordx4 v[138:141], v[47:48], off
	v_mul_u32_u24_sdwa v49, v12, v37 dst_sel:DWORD dst_unused:UNUSED_PAD src0_sel:WORD_0 src1_sel:DWORD
	v_mul_u32_u24_sdwa v12, v12, v37 dst_sel:DWORD dst_unused:UNUSED_PAD src0_sel:WORD_1 src1_sel:DWORD
	v_mul_u32_u24_sdwa v48, v69, v37 dst_sel:DWORD dst_unused:UNUSED_PAD src0_sel:WORD_0 src1_sel:DWORD
	s_waitcnt vmcnt(1)
	ds_write_b128 v33, v[134:137]
	s_waitcnt vmcnt(0)
	ds_write_b128 v34, v[138:141]
	v_pk_fma_f16 v10, v7, v49, v142
	v_pk_fma_f16 v7, v7, v12, v42
	;; [unrolled: 1-line block ×3, first 2 shown]
	v_mul_u32_u24_sdwa v42, v66, v37 dst_sel:DWORD dst_unused:UNUSED_PAD src0_sel:WORD_0 src1_sel:DWORD
	v_pk_fma_f16 v6, v8, v12, v6
	v_mul_u32_u24_sdwa v8, v66, v37 dst_sel:DWORD dst_unused:UNUSED_PAD src0_sel:WORD_1 src1_sel:DWORD
	v_mul_u32_u24_sdwa v12, v67, v37 dst_sel:DWORD dst_unused:UNUSED_PAD src0_sel:WORD_0 src1_sel:DWORD
	v_mul_u32_u24_sdwa v45, v67, v37 dst_sel:DWORD dst_unused:UNUSED_PAD src0_sel:WORD_1 src1_sel:DWORD
	v_pk_fma_f16 v46, v38, v42, v143
	v_mul_u32_u24_sdwa v49, v69, v37 dst_sel:DWORD dst_unused:UNUSED_PAD src0_sel:WORD_1 src1_sel:DWORD
	v_pk_fma_f16 v47, v38, v8, v144
	v_pk_fma_f16 v10, v38, v12, v10
	;; [unrolled: 1-line block ×5, first 2 shown]
	v_mul_u32_u24_sdwa v12, v68, v37 dst_sel:DWORD dst_unused:UNUSED_PAD src0_sel:WORD_0 src1_sel:DWORD
	v_mul_u32_u24_sdwa v42, v68, v37 dst_sel:DWORD dst_unused:UNUSED_PAD src0_sel:WORD_1 src1_sel:DWORD
	v_pk_fma_f16 v8, v39, v8, v146
	v_pk_fma_f16 v6, v39, v45, v6
	;; [unrolled: 1-line block ×6, first 2 shown]
	v_mul_u32_u24_sdwa v40, v74, v37 dst_sel:DWORD dst_unused:UNUSED_PAD src0_sel:WORD_1 src1_sel:DWORD
	v_mul_u32_u24_sdwa v46, v75, v37 dst_sel:DWORD dst_unused:UNUSED_PAD src0_sel:WORD_1 src1_sel:DWORD
	v_pk_fma_f16 v12, v41, v12, v38
	v_pk_fma_f16 v8, v41, v42, v8
	;; [unrolled: 1-line block ×3, first 2 shown]
	v_mul_u32_u24_sdwa v38, v74, v37 dst_sel:DWORD dst_unused:UNUSED_PAD src0_sel:WORD_0 src1_sel:DWORD
	v_mul_u32_u24_sdwa v42, v75, v37 dst_sel:DWORD dst_unused:UNUSED_PAD src0_sel:WORD_0 src1_sel:DWORD
	v_pk_fma_f16 v6, v41, v49, v6
	v_pk_fma_f16 v41, v70, v40, v45
	;; [unrolled: 1-line block ×3, first 2 shown]
	v_mul_u32_u24_sdwa v45, v77, v37 dst_sel:DWORD dst_unused:UNUSED_PAD src0_sel:WORD_1 src1_sel:DWORD
	v_pk_fma_f16 v39, v70, v38, v39
	v_pk_fma_f16 v10, v70, v42, v10
	;; [unrolled: 1-line block ×5, first 2 shown]
	v_mul_u32_u24_sdwa v38, v76, v37 dst_sel:DWORD dst_unused:UNUSED_PAD src0_sel:WORD_0 src1_sel:DWORD
	v_mul_u32_u24_sdwa v40, v76, v37 dst_sel:DWORD dst_unused:UNUSED_PAD src0_sel:WORD_1 src1_sel:DWORD
	v_mul_u32_u24_sdwa v42, v77, v37 dst_sel:DWORD dst_unused:UNUSED_PAD src0_sel:WORD_0 src1_sel:DWORD
	v_pk_fma_f16 v6, v71, v46, v6
	v_pk_fma_f16 v7, v72, v45, v7
	v_mul_u32_u24_sdwa v46, v79, v37 dst_sel:DWORD dst_unused:UNUSED_PAD src0_sel:WORD_1 src1_sel:DWORD
	v_pk_fma_f16 v39, v72, v38, v39
	v_pk_fma_f16 v41, v72, v40, v41
	;; [unrolled: 1-line block ×6, first 2 shown]
	v_mul_u32_u24_sdwa v38, v78, v37 dst_sel:DWORD dst_unused:UNUSED_PAD src0_sel:WORD_0 src1_sel:DWORD
	v_mul_u32_u24_sdwa v40, v78, v37 dst_sel:DWORD dst_unused:UNUSED_PAD src0_sel:WORD_1 src1_sel:DWORD
	v_mul_u32_u24_sdwa v42, v79, v37 dst_sel:DWORD dst_unused:UNUSED_PAD src0_sel:WORD_0 src1_sel:DWORD
	v_pk_fma_f16 v6, v73, v45, v6
	v_mul_u32_u24_sdwa v45, v81, v37 dst_sel:DWORD dst_unused:UNUSED_PAD src0_sel:WORD_1 src1_sel:DWORD
	v_pk_fma_f16 v7, v82, v46, v7
	v_pk_fma_f16 v39, v82, v38, v39
	v_pk_fma_f16 v41, v82, v40, v41
	v_pk_fma_f16 v10, v82, v42, v10
	v_pk_fma_f16 v12, v83, v38, v12
	v_pk_fma_f16 v8, v83, v40, v8
	v_pk_fma_f16 v11, v83, v42, v11
	v_mul_u32_u24_sdwa v38, v80, v37 dst_sel:DWORD dst_unused:UNUSED_PAD src0_sel:WORD_0 src1_sel:DWORD
	v_mul_u32_u24_sdwa v40, v80, v37 dst_sel:DWORD dst_unused:UNUSED_PAD src0_sel:WORD_1 src1_sel:DWORD
	v_mul_u32_u24_sdwa v42, v81, v37 dst_sel:DWORD dst_unused:UNUSED_PAD src0_sel:WORD_0 src1_sel:DWORD
	v_pk_fma_f16 v6, v83, v46, v6
	v_pk_fma_f16 v46, v84, v45, v7
	v_add_f32_e32 v7, v51, v53
	v_pk_fma_f16 v39, v84, v38, v39
	v_pk_fma_f16 v41, v84, v40, v41
	;; [unrolled: 1-line block ×6, first 2 shown]
	v_fmac_f32_e32 v7, v44, v52
	v_mul_u32_u24_sdwa v40, v94, v37 dst_sel:DWORD dst_unused:UNUSED_PAD src0_sel:WORD_0 src1_sel:DWORD
	v_mul_u32_u24_sdwa v42, v94, v37 dst_sel:DWORD dst_unused:UNUSED_PAD src0_sel:WORD_1 src1_sel:DWORD
	v_mul_u32_u24_sdwa v44, v95, v37 dst_sel:DWORD dst_unused:UNUSED_PAD src0_sel:WORD_0 src1_sel:DWORD
	v_pk_fma_f16 v38, v85, v45, v6
	v_add_f32_e32 v6, v50, v64
	v_mul_u32_u24_sdwa v45, v95, v37 dst_sel:DWORD dst_unused:UNUSED_PAD src0_sel:WORD_1 src1_sel:DWORD
	v_pk_fma_f16 v39, v86, v40, v39
	v_pk_fma_f16 v41, v86, v42, v41
	;; [unrolled: 1-line block ×6, first 2 shown]
	v_mul_u32_u24_sdwa v40, v96, v37 dst_sel:DWORD dst_unused:UNUSED_PAD src0_sel:WORD_0 src1_sel:DWORD
	v_mul_u32_u24_sdwa v42, v96, v37 dst_sel:DWORD dst_unused:UNUSED_PAD src0_sel:WORD_1 src1_sel:DWORD
	v_mul_u32_u24_sdwa v44, v97, v37 dst_sel:DWORD dst_unused:UNUSED_PAD src0_sel:WORD_0 src1_sel:DWORD
	v_fmac_f32_e32 v6, v43, v65
	v_pk_fma_f16 v43, v86, v45, v46
	v_mul_u32_u24_sdwa v46, v97, v37 dst_sel:DWORD dst_unused:UNUSED_PAD src0_sel:WORD_1 src1_sel:DWORD
	v_pk_fma_f16 v38, v87, v45, v38
	v_pk_fma_f16 v39, v88, v40, v39
	v_pk_fma_f16 v41, v88, v42, v41
	v_pk_fma_f16 v10, v88, v44, v10
	v_pk_fma_f16 v12, v89, v40, v12
	v_pk_fma_f16 v8, v89, v42, v8
	v_pk_fma_f16 v11, v89, v44, v11
	v_mul_u32_u24_sdwa v40, v98, v37 dst_sel:DWORD dst_unused:UNUSED_PAD src0_sel:WORD_0 src1_sel:DWORD
	v_mul_u32_u24_sdwa v42, v98, v37 dst_sel:DWORD dst_unused:UNUSED_PAD src0_sel:WORD_1 src1_sel:DWORD
	v_mul_u32_u24_sdwa v44, v99, v37 dst_sel:DWORD dst_unused:UNUSED_PAD src0_sel:WORD_0 src1_sel:DWORD
	v_pk_fma_f16 v43, v88, v46, v43
	v_mul_u32_u24_sdwa v45, v99, v37 dst_sel:DWORD dst_unused:UNUSED_PAD src0_sel:WORD_1 src1_sel:DWORD
	v_pk_fma_f16 v38, v89, v46, v38
	v_pk_fma_f16 v39, v90, v40, v39
	v_pk_fma_f16 v41, v90, v42, v41
	v_pk_fma_f16 v10, v90, v44, v10
	v_pk_fma_f16 v12, v91, v40, v12
	v_pk_fma_f16 v8, v91, v42, v8
	v_pk_fma_f16 v11, v91, v44, v11
	v_mul_u32_u24_sdwa v40, v100, v37 dst_sel:DWORD dst_unused:UNUSED_PAD src0_sel:WORD_0 src1_sel:DWORD
	v_mul_u32_u24_sdwa v42, v100, v37 dst_sel:DWORD dst_unused:UNUSED_PAD src0_sel:WORD_1 src1_sel:DWORD
	v_mul_u32_u24_sdwa v44, v101, v37 dst_sel:DWORD dst_unused:UNUSED_PAD src0_sel:WORD_0 src1_sel:DWORD
	;; [unrolled: 12-line block ×8, first 2 shown]
	v_pk_fma_f16 v43, v118, v45, v43
	v_mul_u32_u24_sdwa v46, v129, v37 dst_sel:DWORD dst_unused:UNUSED_PAD src0_sel:WORD_1 src1_sel:DWORD
	v_pk_fma_f16 v38, v119, v45, v38
	v_pk_fma_f16 v39, v120, v40, v39
	;; [unrolled: 1-line block ×6, first 2 shown]
	v_mul_u32_u24_sdwa v42, v130, v37 dst_sel:DWORD dst_unused:UNUSED_PAD src0_sel:WORD_0 src1_sel:DWORD
	v_mul_u32_u24_sdwa v44, v130, v37 dst_sel:DWORD dst_unused:UNUSED_PAD src0_sel:WORD_1 src1_sel:DWORD
	v_pk_fma_f16 v43, v120, v46, v43
	v_pk_fma_f16 v12, v121, v40, v12
	v_mul_u32_u24_sdwa v45, v131, v37 dst_sel:DWORD dst_unused:UNUSED_PAD src0_sel:WORD_0 src1_sel:DWORD
	v_pk_fma_f16 v46, v121, v46, v38
	v_mul_u32_u24_sdwa v47, v131, v37 dst_sel:DWORD dst_unused:UNUSED_PAD src0_sel:WORD_1 src1_sel:DWORD
	v_pk_fma_f16 v48, v122, v42, v39
	v_pk_fma_f16 v49, v122, v44, v41
	s_waitcnt lgkmcnt(0)
	s_barrier
	buffer_gl0_inv
	ds_read_b128 v[38:41], v32 offset:256
	v_pk_fma_f16 v10, v122, v45, v10
	v_pk_fma_f16 v50, v122, v47, v43
	;; [unrolled: 1-line block ×5, first 2 shown]
	ds_read2_b64 v[42:45], v61 offset1:32
	v_mul_u32_u24_sdwa v51, v132, v37 dst_sel:DWORD dst_unused:UNUSED_PAD src0_sel:WORD_0 src1_sel:DWORD
	v_mul_u32_u24_sdwa v52, v132, v37 dst_sel:DWORD dst_unused:UNUSED_PAD src0_sel:WORD_1 src1_sel:DWORD
	v_mul_u32_u24_sdwa v53, v133, v37 dst_sel:DWORD dst_unused:UNUSED_PAD src0_sel:WORD_0 src1_sel:DWORD
	v_mul_u32_u24_sdwa v63, v133, v37 dst_sel:DWORD dst_unused:UNUSED_PAD src0_sel:WORD_1 src1_sel:DWORD
	v_pk_fma_f16 v46, v123, v47, v46
	v_pk_fma_f16 v67, v124, v51, v48
	;; [unrolled: 1-line block ×7, first 2 shown]
	ds_read_b128 v[46:49], v32 offset:272
	v_pk_fma_f16 v8, v125, v52, v8
	s_waitcnt lgkmcnt(2)
	v_mul_u32_u24_sdwa v70, v38, v37 dst_sel:DWORD dst_unused:UNUSED_PAD src0_sel:WORD_0 src1_sel:DWORD
	v_mul_u32_u24_sdwa v38, v38, v37 dst_sel:DWORD dst_unused:UNUSED_PAD src0_sel:WORD_1 src1_sel:DWORD
	v_mul_u32_u24_sdwa v72, v39, v37 dst_sel:DWORD dst_unused:UNUSED_PAD src0_sel:WORD_0 src1_sel:DWORD
	v_mul_u32_u24_sdwa v39, v39, v37 dst_sel:DWORD dst_unused:UNUSED_PAD src0_sel:WORD_1 src1_sel:DWORD
	v_pk_fma_f16 v11, v125, v53, v11
	ds_read_b128 v[50:53], v32 offset:288
	ds_read_b128 v[63:66], v32 offset:304
	s_waitcnt lgkmcnt(3)
	v_pk_fma_f16 v73, v42, v70, v67
	v_pk_fma_f16 v74, v42, v38, v68
	v_pk_fma_f16 v10, v42, v72, v10
	v_pk_fma_f16 v42, v42, v39, v69
	v_pk_fma_f16 v12, v43, v70, v12
	ds_read2_b64 v[67:70], v61 offset0:64 offset1:96
	v_pk_fma_f16 v8, v43, v38, v8
	v_mul_u32_u24_sdwa v38, v40, v37 dst_sel:DWORD dst_unused:UNUSED_PAD src0_sel:WORD_0 src1_sel:DWORD
	v_pk_fma_f16 v11, v43, v72, v11
	v_mul_u32_u24_sdwa v40, v40, v37 dst_sel:DWORD dst_unused:UNUSED_PAD src0_sel:WORD_1 src1_sel:DWORD
	v_mul_u32_u24_sdwa v72, v41, v37 dst_sel:DWORD dst_unused:UNUSED_PAD src0_sel:WORD_0 src1_sel:DWORD
	v_mul_u32_u24_sdwa v41, v41, v37 dst_sel:DWORD dst_unused:UNUSED_PAD src0_sel:WORD_1 src1_sel:DWORD
	v_pk_fma_f16 v39, v43, v39, v71
	v_pk_fma_f16 v43, v44, v38, v73
	;; [unrolled: 1-line block ×3, first 2 shown]
	s_waitcnt lgkmcnt(3)
	v_mul_u32_u24_sdwa v38, v46, v37 dst_sel:DWORD dst_unused:UNUSED_PAD src0_sel:WORD_0 src1_sel:DWORD
	v_pk_fma_f16 v71, v44, v40, v74
	v_pk_fma_f16 v42, v44, v41, v42
	;; [unrolled: 1-line block ×6, first 2 shown]
	v_mul_u32_u24_sdwa v44, v46, v37 dst_sel:DWORD dst_unused:UNUSED_PAD src0_sel:WORD_1 src1_sel:DWORD
	v_mul_u32_u24_sdwa v46, v47, v37 dst_sel:DWORD dst_unused:UNUSED_PAD src0_sel:WORD_0 src1_sel:DWORD
	v_mul_u32_u24_sdwa v47, v47, v37 dst_sel:DWORD dst_unused:UNUSED_PAD src0_sel:WORD_1 src1_sel:DWORD
	s_waitcnt lgkmcnt(0)
	v_pk_fma_f16 v43, v67, v38, v43
	v_pk_fma_f16 v12, v68, v38, v12
	ds_read2_b64 v[38:41], v61 offset0:128 offset1:160
	v_pk_fma_f16 v71, v67, v44, v71
	v_pk_fma_f16 v10, v67, v46, v10
	;; [unrolled: 1-line block ×5, first 2 shown]
	v_mul_u32_u24_sdwa v44, v48, v37 dst_sel:DWORD dst_unused:UNUSED_PAD src0_sel:WORD_0 src1_sel:DWORD
	v_mul_u32_u24_sdwa v46, v48, v37 dst_sel:DWORD dst_unused:UNUSED_PAD src0_sel:WORD_1 src1_sel:DWORD
	v_mul_u32_u24_sdwa v48, v49, v37 dst_sel:DWORD dst_unused:UNUSED_PAD src0_sel:WORD_0 src1_sel:DWORD
	v_mul_u32_u24_sdwa v49, v49, v37 dst_sel:DWORD dst_unused:UNUSED_PAD src0_sel:WORD_1 src1_sel:DWORD
	v_pk_fma_f16 v45, v68, v47, v45
	v_pk_fma_f16 v43, v69, v44, v43
	;; [unrolled: 1-line block ×8, first 2 shown]
	v_mul_u32_u24_sdwa v44, v50, v37 dst_sel:DWORD dst_unused:UNUSED_PAD src0_sel:WORD_0 src1_sel:DWORD
	v_mul_u32_u24_sdwa v46, v50, v37 dst_sel:DWORD dst_unused:UNUSED_PAD src0_sel:WORD_1 src1_sel:DWORD
	v_mul_u32_u24_sdwa v48, v51, v37 dst_sel:DWORD dst_unused:UNUSED_PAD src0_sel:WORD_0 src1_sel:DWORD
	v_mul_u32_u24_sdwa v50, v51, v37 dst_sel:DWORD dst_unused:UNUSED_PAD src0_sel:WORD_1 src1_sel:DWORD
	v_pk_fma_f16 v49, v70, v49, v45
	s_waitcnt lgkmcnt(0)
	v_pk_fma_f16 v51, v38, v44, v43
	v_pk_fma_f16 v47, v38, v46, v47
	;; [unrolled: 1-line block ×5, first 2 shown]
	ds_read2_b64 v[42:45], v61 offset0:192 offset1:224
	v_pk_fma_f16 v8, v39, v46, v8
	v_pk_fma_f16 v11, v39, v48, v11
	v_mul_u32_u24_sdwa v46, v52, v37 dst_sel:DWORD dst_unused:UNUSED_PAD src0_sel:WORD_0 src1_sel:DWORD
	v_mul_u32_u24_sdwa v48, v52, v37 dst_sel:DWORD dst_unused:UNUSED_PAD src0_sel:WORD_1 src1_sel:DWORD
	v_mul_u32_u24_sdwa v52, v53, v37 dst_sel:DWORD dst_unused:UNUSED_PAD src0_sel:WORD_0 src1_sel:DWORD
	v_mul_u32_u24_sdwa v53, v53, v37 dst_sel:DWORD dst_unused:UNUSED_PAD src0_sel:WORD_1 src1_sel:DWORD
	v_pk_fma_f16 v39, v39, v50, v49
	v_pk_fma_f16 v49, v40, v46, v51
	;; [unrolled: 1-line block ×8, first 2 shown]
	v_mul_u32_u24_sdwa v46, v63, v37 dst_sel:DWORD dst_unused:UNUSED_PAD src0_sel:WORD_0 src1_sel:DWORD
	v_mul_u32_u24_sdwa v48, v63, v37 dst_sel:DWORD dst_unused:UNUSED_PAD src0_sel:WORD_1 src1_sel:DWORD
	v_pk_fma_f16 v51, v41, v53, v39
	ds_read_b128 v[38:41], v32 offset:320
	v_mul_u32_u24_sdwa v52, v64, v37 dst_sel:DWORD dst_unused:UNUSED_PAD src0_sel:WORD_0 src1_sel:DWORD
	s_waitcnt lgkmcnt(1)
	v_pk_fma_f16 v61, v42, v46, v49
	v_pk_fma_f16 v63, v42, v48, v47
	;; [unrolled: 1-line block ×4, first 2 shown]
	ds_read2_b64 v[46:49], v62 offset1:32
	v_mul_u32_u24_sdwa v53, v64, v37 dst_sel:DWORD dst_unused:UNUSED_PAD src0_sel:WORD_1 src1_sel:DWORD
	v_pk_fma_f16 v10, v42, v52, v10
	v_pk_fma_f16 v11, v43, v52, v11
	v_mul_u32_u24_sdwa v52, v65, v37 dst_sel:DWORD dst_unused:UNUSED_PAD src0_sel:WORD_1 src1_sel:DWORD
	v_mul_u32_u24_sdwa v64, v66, v37 dst_sel:DWORD dst_unused:UNUSED_PAD src0_sel:WORD_0 src1_sel:DWORD
	v_pk_fma_f16 v42, v42, v53, v50
	v_mul_u32_u24_sdwa v50, v65, v37 dst_sel:DWORD dst_unused:UNUSED_PAD src0_sel:WORD_0 src1_sel:DWORD
	v_mul_u32_u24_sdwa v65, v66, v37 dst_sel:DWORD dst_unused:UNUSED_PAD src0_sel:WORD_1 src1_sel:DWORD
	v_pk_fma_f16 v43, v43, v53, v51
	v_pk_fma_f16 v63, v44, v52, v63
	v_pk_fma_f16 v10, v44, v64, v10
	v_pk_fma_f16 v61, v44, v50, v61
	v_pk_fma_f16 v42, v44, v65, v42
	v_pk_fma_f16 v12, v45, v50, v12
	v_pk_fma_f16 v8, v45, v52, v8
	v_pk_fma_f16 v11, v45, v64, v11
	ds_read_b128 v[50:53], v32 offset:336
	s_waitcnt lgkmcnt(2)
	v_mul_u32_u24_sdwa v44, v38, v37 dst_sel:DWORD dst_unused:UNUSED_PAD src0_sel:WORD_0 src1_sel:DWORD
	v_mul_u32_u24_sdwa v38, v38, v37 dst_sel:DWORD dst_unused:UNUSED_PAD src0_sel:WORD_1 src1_sel:DWORD
	v_mul_u32_u24_sdwa v64, v39, v37 dst_sel:DWORD dst_unused:UNUSED_PAD src0_sel:WORD_0 src1_sel:DWORD
	v_mul_u32_u24_sdwa v39, v39, v37 dst_sel:DWORD dst_unused:UNUSED_PAD src0_sel:WORD_1 src1_sel:DWORD
	v_pk_fma_f16 v65, v45, v65, v43
	s_waitcnt lgkmcnt(1)
	v_pk_fma_f16 v61, v46, v44, v61
	v_pk_fma_f16 v63, v46, v38, v63
	;; [unrolled: 1-line block ×5, first 2 shown]
	ds_read2_b64 v[42:45], v62 offset0:64 offset1:96
	v_pk_fma_f16 v8, v47, v38, v8
	v_pk_fma_f16 v11, v47, v64, v11
	v_mul_u32_u24_sdwa v38, v40, v37 dst_sel:DWORD dst_unused:UNUSED_PAD src0_sel:WORD_0 src1_sel:DWORD
	v_mul_u32_u24_sdwa v40, v40, v37 dst_sel:DWORD dst_unused:UNUSED_PAD src0_sel:WORD_1 src1_sel:DWORD
	v_mul_u32_u24_sdwa v64, v41, v37 dst_sel:DWORD dst_unused:UNUSED_PAD src0_sel:WORD_0 src1_sel:DWORD
	v_mul_u32_u24_sdwa v41, v41, v37 dst_sel:DWORD dst_unused:UNUSED_PAD src0_sel:WORD_1 src1_sel:DWORD
	v_pk_fma_f16 v39, v47, v39, v65
	v_pk_fma_f16 v47, v48, v38, v61
	;; [unrolled: 1-line block ×8, first 2 shown]
	s_waitcnt lgkmcnt(1)
	v_mul_u32_u24_sdwa v48, v50, v37 dst_sel:DWORD dst_unused:UNUSED_PAD src0_sel:WORD_0 src1_sel:DWORD
	v_mul_u32_u24_sdwa v50, v50, v37 dst_sel:DWORD dst_unused:UNUSED_PAD src0_sel:WORD_1 src1_sel:DWORD
	v_pk_fma_f16 v63, v49, v41, v39
	v_mul_u32_u24_sdwa v64, v51, v37 dst_sel:DWORD dst_unused:UNUSED_PAD src0_sel:WORD_0 src1_sel:DWORD
	v_mul_u32_u24_sdwa v51, v51, v37 dst_sel:DWORD dst_unused:UNUSED_PAD src0_sel:WORD_1 src1_sel:DWORD
	ds_read_b128 v[38:41], v32 offset:352
	s_waitcnt lgkmcnt(1)
	v_pk_fma_f16 v65, v42, v48, v47
	v_pk_fma_f16 v61, v42, v50, v61
	;; [unrolled: 1-line block ×5, first 2 shown]
	ds_read2_b64 v[46:49], v62 offset0:128 offset1:160
	v_pk_fma_f16 v8, v43, v50, v8
	v_pk_fma_f16 v11, v43, v64, v11
	v_mul_u32_u24_sdwa v50, v52, v37 dst_sel:DWORD dst_unused:UNUSED_PAD src0_sel:WORD_0 src1_sel:DWORD
	v_mul_u32_u24_sdwa v52, v52, v37 dst_sel:DWORD dst_unused:UNUSED_PAD src0_sel:WORD_1 src1_sel:DWORD
	v_mul_u32_u24_sdwa v64, v53, v37 dst_sel:DWORD dst_unused:UNUSED_PAD src0_sel:WORD_0 src1_sel:DWORD
	v_mul_u32_u24_sdwa v66, v53, v37 dst_sel:DWORD dst_unused:UNUSED_PAD src0_sel:WORD_1 src1_sel:DWORD
	v_pk_fma_f16 v43, v43, v51, v63
	v_pk_fma_f16 v63, v44, v50, v65
	;; [unrolled: 1-line block ×8, first 2 shown]
	ds_read_b128 v[50:53], v32 offset:368
	s_waitcnt lgkmcnt(2)
	v_mul_u32_u24_sdwa v44, v38, v37 dst_sel:DWORD dst_unused:UNUSED_PAD src0_sel:WORD_0 src1_sel:DWORD
	v_mul_u32_u24_sdwa v38, v38, v37 dst_sel:DWORD dst_unused:UNUSED_PAD src0_sel:WORD_1 src1_sel:DWORD
	v_mul_u32_u24_sdwa v64, v39, v37 dst_sel:DWORD dst_unused:UNUSED_PAD src0_sel:WORD_0 src1_sel:DWORD
	v_mul_u32_u24_sdwa v39, v39, v37 dst_sel:DWORD dst_unused:UNUSED_PAD src0_sel:WORD_1 src1_sel:DWORD
	v_pk_fma_f16 v65, v45, v66, v43
	s_waitcnt lgkmcnt(1)
	v_pk_fma_f16 v63, v46, v44, v63
	v_pk_fma_f16 v61, v46, v38, v61
	;; [unrolled: 1-line block ×5, first 2 shown]
	ds_read2_b64 v[42:45], v62 offset0:192 offset1:224
	v_pk_fma_f16 v8, v47, v38, v8
	v_pk_fma_f16 v11, v47, v64, v11
	v_mul_u32_u24_sdwa v38, v40, v37 dst_sel:DWORD dst_unused:UNUSED_PAD src0_sel:WORD_0 src1_sel:DWORD
	v_mul_u32_u24_sdwa v40, v40, v37 dst_sel:DWORD dst_unused:UNUSED_PAD src0_sel:WORD_1 src1_sel:DWORD
	v_mul_u32_u24_sdwa v62, v41, v37 dst_sel:DWORD dst_unused:UNUSED_PAD src0_sel:WORD_0 src1_sel:DWORD
	v_mul_u32_u24_sdwa v41, v41, v37 dst_sel:DWORD dst_unused:UNUSED_PAD src0_sel:WORD_1 src1_sel:DWORD
	v_pk_fma_f16 v39, v47, v39, v65
	v_pk_fma_f16 v47, v48, v38, v63
	v_pk_fma_f16 v61, v48, v40, v61
	v_pk_fma_f16 v10, v48, v62, v10
	v_pk_fma_f16 v46, v48, v41, v46
	v_pk_fma_f16 v12, v49, v38, v12
	v_pk_fma_f16 v8, v49, v40, v8
	v_pk_fma_f16 v11, v49, v62, v11
	s_waitcnt lgkmcnt(1)
	v_mul_u32_u24_sdwa v48, v50, v37 dst_sel:DWORD dst_unused:UNUSED_PAD src0_sel:WORD_0 src1_sel:DWORD
	v_mul_u32_u24_sdwa v50, v50, v37 dst_sel:DWORD dst_unused:UNUSED_PAD src0_sel:WORD_1 src1_sel:DWORD
	v_pk_fma_f16 v62, v49, v41, v39
	v_mul_u32_u24_sdwa v63, v51, v37 dst_sel:DWORD dst_unused:UNUSED_PAD src0_sel:WORD_0 src1_sel:DWORD
	v_mul_u32_u24_sdwa v51, v51, v37 dst_sel:DWORD dst_unused:UNUSED_PAD src0_sel:WORD_1 src1_sel:DWORD
	ds_read_b128 v[38:41], v32 offset:384
	s_waitcnt lgkmcnt(1)
	v_pk_fma_f16 v64, v42, v48, v47
	v_pk_fma_f16 v61, v42, v50, v61
	;; [unrolled: 1-line block ×5, first 2 shown]
	ds_read2_b64 v[46:49], v9 offset1:32
	v_pk_fma_f16 v8, v43, v50, v8
	v_pk_fma_f16 v11, v43, v63, v11
	v_mul_u32_u24_sdwa v50, v52, v37 dst_sel:DWORD dst_unused:UNUSED_PAD src0_sel:WORD_0 src1_sel:DWORD
	v_mul_u32_u24_sdwa v52, v52, v37 dst_sel:DWORD dst_unused:UNUSED_PAD src0_sel:WORD_1 src1_sel:DWORD
	v_mul_u32_u24_sdwa v63, v53, v37 dst_sel:DWORD dst_unused:UNUSED_PAD src0_sel:WORD_0 src1_sel:DWORD
	v_mul_u32_u24_sdwa v65, v53, v37 dst_sel:DWORD dst_unused:UNUSED_PAD src0_sel:WORD_1 src1_sel:DWORD
	v_pk_fma_f16 v43, v43, v51, v62
	v_pk_fma_f16 v62, v44, v50, v64
	;; [unrolled: 1-line block ×8, first 2 shown]
	ds_read_b128 v[50:53], v32 offset:400
	s_waitcnt lgkmcnt(2)
	v_mul_u32_u24_sdwa v44, v38, v37 dst_sel:DWORD dst_unused:UNUSED_PAD src0_sel:WORD_0 src1_sel:DWORD
	v_mul_u32_u24_sdwa v38, v38, v37 dst_sel:DWORD dst_unused:UNUSED_PAD src0_sel:WORD_1 src1_sel:DWORD
	v_mul_u32_u24_sdwa v63, v39, v37 dst_sel:DWORD dst_unused:UNUSED_PAD src0_sel:WORD_0 src1_sel:DWORD
	v_mul_u32_u24_sdwa v39, v39, v37 dst_sel:DWORD dst_unused:UNUSED_PAD src0_sel:WORD_1 src1_sel:DWORD
	v_pk_fma_f16 v64, v45, v65, v43
	s_waitcnt lgkmcnt(1)
	v_pk_fma_f16 v62, v46, v44, v62
	v_pk_fma_f16 v61, v46, v38, v61
	;; [unrolled: 1-line block ×5, first 2 shown]
	ds_read2_b64 v[42:45], v9 offset0:64 offset1:96
	v_pk_fma_f16 v8, v47, v38, v8
	v_pk_fma_f16 v11, v47, v63, v11
	v_mul_u32_u24_sdwa v38, v40, v37 dst_sel:DWORD dst_unused:UNUSED_PAD src0_sel:WORD_0 src1_sel:DWORD
	v_mul_u32_u24_sdwa v40, v40, v37 dst_sel:DWORD dst_unused:UNUSED_PAD src0_sel:WORD_1 src1_sel:DWORD
	v_mul_u32_u24_sdwa v63, v41, v37 dst_sel:DWORD dst_unused:UNUSED_PAD src0_sel:WORD_0 src1_sel:DWORD
	v_mul_u32_u24_sdwa v41, v41, v37 dst_sel:DWORD dst_unused:UNUSED_PAD src0_sel:WORD_1 src1_sel:DWORD
	v_pk_fma_f16 v39, v47, v39, v64
	v_pk_fma_f16 v47, v48, v38, v62
	;; [unrolled: 1-line block ×8, first 2 shown]
	s_waitcnt lgkmcnt(1)
	v_mul_u32_u24_sdwa v48, v50, v37 dst_sel:DWORD dst_unused:UNUSED_PAD src0_sel:WORD_0 src1_sel:DWORD
	v_mul_u32_u24_sdwa v50, v50, v37 dst_sel:DWORD dst_unused:UNUSED_PAD src0_sel:WORD_1 src1_sel:DWORD
	v_pk_fma_f16 v62, v49, v41, v39
	v_mul_u32_u24_sdwa v63, v51, v37 dst_sel:DWORD dst_unused:UNUSED_PAD src0_sel:WORD_0 src1_sel:DWORD
	v_mul_u32_u24_sdwa v51, v51, v37 dst_sel:DWORD dst_unused:UNUSED_PAD src0_sel:WORD_1 src1_sel:DWORD
	ds_read_b128 v[38:41], v32 offset:416
	s_waitcnt lgkmcnt(1)
	v_pk_fma_f16 v64, v42, v48, v47
	v_pk_fma_f16 v61, v42, v50, v61
	;; [unrolled: 1-line block ×5, first 2 shown]
	ds_read2_b64 v[46:49], v9 offset0:128 offset1:160
	v_pk_fma_f16 v8, v43, v50, v8
	v_pk_fma_f16 v11, v43, v63, v11
	v_mul_u32_u24_sdwa v50, v52, v37 dst_sel:DWORD dst_unused:UNUSED_PAD src0_sel:WORD_0 src1_sel:DWORD
	v_mul_u32_u24_sdwa v52, v52, v37 dst_sel:DWORD dst_unused:UNUSED_PAD src0_sel:WORD_1 src1_sel:DWORD
	v_mul_u32_u24_sdwa v63, v53, v37 dst_sel:DWORD dst_unused:UNUSED_PAD src0_sel:WORD_0 src1_sel:DWORD
	v_mul_u32_u24_sdwa v65, v53, v37 dst_sel:DWORD dst_unused:UNUSED_PAD src0_sel:WORD_1 src1_sel:DWORD
	v_pk_fma_f16 v43, v43, v51, v62
	v_pk_fma_f16 v62, v44, v50, v64
	;; [unrolled: 1-line block ×7, first 2 shown]
	ds_read_b128 v[50:53], v32 offset:432
	s_waitcnt lgkmcnt(2)
	v_mul_u32_u24_sdwa v8, v38, v37 dst_sel:DWORD dst_unused:UNUSED_PAD src0_sel:WORD_0 src1_sel:DWORD
	v_mul_u32_u24_sdwa v64, v39, v37 dst_sel:DWORD dst_unused:UNUSED_PAD src0_sel:WORD_0 src1_sel:DWORD
	v_pk_fma_f16 v63, v45, v63, v11
	v_pk_fma_f16 v43, v45, v65, v43
	v_mul_u32_u24_sdwa v38, v38, v37 dst_sel:DWORD dst_unused:UNUSED_PAD src0_sel:WORD_1 src1_sel:DWORD
	s_waitcnt lgkmcnt(1)
	v_pk_fma_f16 v45, v46, v8, v62
	v_pk_fma_f16 v62, v46, v64, v10
	;; [unrolled: 1-line block ×3, first 2 shown]
	ds_read2_b64 v[8:11], v9 offset0:192 offset1:224
	v_mul_u32_u24_sdwa v39, v39, v37 dst_sel:DWORD dst_unused:UNUSED_PAD src0_sel:WORD_1 src1_sel:DWORD
	v_pk_fma_f16 v61, v46, v38, v61
	v_pk_fma_f16 v38, v47, v38, v44
	;; [unrolled: 1-line block ×3, first 2 shown]
	v_mul_u32_u24_sdwa v63, v41, v37 dst_sel:DWORD dst_unused:UNUSED_PAD src0_sel:WORD_0 src1_sel:DWORD
	v_pk_fma_f16 v42, v46, v39, v42
	v_mul_u32_u24_sdwa v46, v40, v37 dst_sel:DWORD dst_unused:UNUSED_PAD src0_sel:WORD_0 src1_sel:DWORD
	v_mul_u32_u24_sdwa v40, v40, v37 dst_sel:DWORD dst_unused:UNUSED_PAD src0_sel:WORD_1 src1_sel:DWORD
	v_mul_u32_u24_sdwa v41, v41, v37 dst_sel:DWORD dst_unused:UNUSED_PAD src0_sel:WORD_1 src1_sel:DWORD
	v_pk_fma_f16 v39, v47, v39, v43
	v_pk_fma_f16 v47, v48, v63, v62
	;; [unrolled: 1-line block ×8, first 2 shown]
	s_waitcnt lgkmcnt(1)
	v_mul_u32_u24_sdwa v44, v50, v37 dst_sel:DWORD dst_unused:UNUSED_PAD src0_sel:WORD_0 src1_sel:DWORD
	v_mul_u32_u24_sdwa v50, v50, v37 dst_sel:DWORD dst_unused:UNUSED_PAD src0_sel:WORD_1 src1_sel:DWORD
	v_pk_fma_f16 v49, v49, v41, v39
	v_mul_u32_u24_sdwa v61, v51, v37 dst_sel:DWORD dst_unused:UNUSED_PAD src0_sel:WORD_0 src1_sel:DWORD
	v_mul_u32_u24_sdwa v51, v51, v37 dst_sel:DWORD dst_unused:UNUSED_PAD src0_sel:WORD_1 src1_sel:DWORD
	ds_read_b128 v[38:41], v32 offset:448
	s_waitcnt lgkmcnt(1)
	v_pk_fma_f16 v62, v8, v44, v43
	v_pk_fma_f16 v63, v8, v50, v45
	;; [unrolled: 1-line block ×5, first 2 shown]
	ds_read2_b64 v[42:45], v5 offset1:32
	v_pk_fma_f16 v46, v9, v50, v46
	v_pk_fma_f16 v48, v9, v61, v48
	v_mul_u32_u24_sdwa v50, v52, v37 dst_sel:DWORD dst_unused:UNUSED_PAD src0_sel:WORD_0 src1_sel:DWORD
	v_mul_u32_u24_sdwa v52, v52, v37 dst_sel:DWORD dst_unused:UNUSED_PAD src0_sel:WORD_1 src1_sel:DWORD
	v_mul_u32_u24_sdwa v61, v53, v37 dst_sel:DWORD dst_unused:UNUSED_PAD src0_sel:WORD_0 src1_sel:DWORD
	v_mul_u32_u24_sdwa v53, v53, v37 dst_sel:DWORD dst_unused:UNUSED_PAD src0_sel:WORD_1 src1_sel:DWORD
	v_pk_fma_f16 v9, v9, v51, v49
	v_pk_fma_f16 v51, v10, v50, v62
	;; [unrolled: 1-line block ×8, first 2 shown]
	ds_read_b128 v[46:49], v32 offset:464
	s_waitcnt lgkmcnt(2)
	v_mul_u32_u24_sdwa v52, v38, v37 dst_sel:DWORD dst_unused:UNUSED_PAD src0_sel:WORD_0 src1_sel:DWORD
	v_mul_u32_u24_sdwa v38, v38, v37 dst_sel:DWORD dst_unused:UNUSED_PAD src0_sel:WORD_1 src1_sel:DWORD
	v_mul_u32_u24_sdwa v61, v39, v37 dst_sel:DWORD dst_unused:UNUSED_PAD src0_sel:WORD_0 src1_sel:DWORD
	v_mul_u32_u24_sdwa v39, v39, v37 dst_sel:DWORD dst_unused:UNUSED_PAD src0_sel:WORD_1 src1_sel:DWORD
	v_pk_fma_f16 v53, v11, v53, v9
	s_waitcnt lgkmcnt(1)
	v_pk_fma_f16 v51, v42, v52, v51
	v_pk_fma_f16 v62, v42, v38, v62
	;; [unrolled: 1-line block ×5, first 2 shown]
	ds_read2_b64 v[8:11], v5 offset0:64 offset1:96
	v_pk_fma_f16 v12, v43, v38, v12
	v_pk_fma_f16 v38, v43, v61, v50
	v_mul_u32_u24_sdwa v50, v40, v37 dst_sel:DWORD dst_unused:UNUSED_PAD src0_sel:WORD_0 src1_sel:DWORD
	v_mul_u32_u24_sdwa v40, v40, v37 dst_sel:DWORD dst_unused:UNUSED_PAD src0_sel:WORD_1 src1_sel:DWORD
	v_mul_u32_u24_sdwa v61, v41, v37 dst_sel:DWORD dst_unused:UNUSED_PAD src0_sel:WORD_0 src1_sel:DWORD
	v_mul_u32_u24_sdwa v41, v41, v37 dst_sel:DWORD dst_unused:UNUSED_PAD src0_sel:WORD_1 src1_sel:DWORD
	v_pk_fma_f16 v39, v43, v39, v53
	v_pk_fma_f16 v43, v44, v50, v51
	;; [unrolled: 1-line block ×8, first 2 shown]
	s_waitcnt lgkmcnt(1)
	v_mul_u32_u24_sdwa v52, v46, v37 dst_sel:DWORD dst_unused:UNUSED_PAD src0_sel:WORD_0 src1_sel:DWORD
	v_mul_u32_u24_sdwa v46, v46, v37 dst_sel:DWORD dst_unused:UNUSED_PAD src0_sel:WORD_1 src1_sel:DWORD
	v_pk_fma_f16 v61, v45, v41, v39
	v_mul_u32_u24_sdwa v62, v47, v37 dst_sel:DWORD dst_unused:UNUSED_PAD src0_sel:WORD_0 src1_sel:DWORD
	v_mul_u32_u24_sdwa v47, v47, v37 dst_sel:DWORD dst_unused:UNUSED_PAD src0_sel:WORD_1 src1_sel:DWORD
	ds_read_b128 v[38:41], v32 offset:480
	s_waitcnt lgkmcnt(1)
	v_pk_fma_f16 v63, v8, v52, v43
	v_pk_fma_f16 v51, v8, v46, v51
	v_pk_fma_f16 v53, v8, v62, v53
	v_pk_fma_f16 v8, v8, v47, v42
	v_pk_fma_f16 v52, v9, v52, v44
	ds_read2_b64 v[42:45], v5 offset0:128 offset1:160
	v_pk_fma_f16 v12, v9, v46, v12
	v_pk_fma_f16 v46, v9, v62, v50
	v_mul_u32_u24_sdwa v50, v48, v37 dst_sel:DWORD dst_unused:UNUSED_PAD src0_sel:WORD_0 src1_sel:DWORD
	v_mul_u32_u24_sdwa v48, v48, v37 dst_sel:DWORD dst_unused:UNUSED_PAD src0_sel:WORD_1 src1_sel:DWORD
	v_mul_u32_u24_sdwa v62, v49, v37 dst_sel:DWORD dst_unused:UNUSED_PAD src0_sel:WORD_0 src1_sel:DWORD
	v_mul_u32_u24_sdwa v64, v49, v37 dst_sel:DWORD dst_unused:UNUSED_PAD src0_sel:WORD_1 src1_sel:DWORD
	v_pk_fma_f16 v9, v9, v47, v61
	v_pk_fma_f16 v61, v10, v50, v63
	;; [unrolled: 1-line block ×8, first 2 shown]
	ds_read_b128 v[46:49], v32 offset:496
	s_waitcnt lgkmcnt(2)
	v_mul_u32_u24_sdwa v52, v38, v37 dst_sel:DWORD dst_unused:UNUSED_PAD src0_sel:WORD_0 src1_sel:DWORD
	v_mul_u32_u24_sdwa v38, v38, v37 dst_sel:DWORD dst_unused:UNUSED_PAD src0_sel:WORD_1 src1_sel:DWORD
	v_mul_u32_u24_sdwa v62, v39, v37 dst_sel:DWORD dst_unused:UNUSED_PAD src0_sel:WORD_0 src1_sel:DWORD
	v_mul_u32_u24_sdwa v39, v39, v37 dst_sel:DWORD dst_unused:UNUSED_PAD src0_sel:WORD_1 src1_sel:DWORD
	v_pk_fma_f16 v63, v11, v64, v9
	s_waitcnt lgkmcnt(1)
	v_pk_fma_f16 v61, v42, v52, v61
	v_pk_fma_f16 v51, v42, v38, v51
	;; [unrolled: 1-line block ×5, first 2 shown]
	ds_read2_b64 v[8:11], v5 offset0:192 offset1:224
	s_waitcnt lgkmcnt(0)
	s_barrier
	buffer_gl0_inv
	s_load_dword s18, s[0:1], 0x4
	v_pk_fma_f16 v12, v43, v38, v12
	v_pk_fma_f16 v38, v43, v62, v50
	v_mul_u32_u24_sdwa v50, v40, v37 dst_sel:DWORD dst_unused:UNUSED_PAD src0_sel:WORD_0 src1_sel:DWORD
	v_mul_u32_u24_sdwa v40, v40, v37 dst_sel:DWORD dst_unused:UNUSED_PAD src0_sel:WORD_1 src1_sel:DWORD
	v_mul_u32_u24_sdwa v5, v41, v37 dst_sel:DWORD dst_unused:UNUSED_PAD src0_sel:WORD_0 src1_sel:DWORD
	v_mul_u32_u24_sdwa v41, v41, v37 dst_sel:DWORD dst_unused:UNUSED_PAD src0_sel:WORD_1 src1_sel:DWORD
	v_pk_fma_f16 v39, v43, v39, v63
	v_pk_fma_f16 v43, v44, v50, v61
	;; [unrolled: 1-line block ×9, first 2 shown]
	v_mul_u32_u24_sdwa v39, v46, v37 dst_sel:DWORD dst_unused:UNUSED_PAD src0_sel:WORD_0 src1_sel:DWORD
	v_mul_u32_u24_sdwa v40, v46, v37 dst_sel:DWORD dst_unused:UNUSED_PAD src0_sel:WORD_1 src1_sel:DWORD
	v_mul_u32_u24_sdwa v41, v47, v37 dst_sel:DWORD dst_unused:UNUSED_PAD src0_sel:WORD_0 src1_sel:DWORD
	v_mul_u32_u24_sdwa v45, v47, v37 dst_sel:DWORD dst_unused:UNUSED_PAD src0_sel:WORD_1 src1_sel:DWORD
	v_mul_u32_u24_sdwa v50, v48, v37 dst_sel:DWORD dst_unused:UNUSED_PAD src0_sel:WORD_1 src1_sel:DWORD
	v_pk_fma_f16 v43, v8, v39, v43
	v_pk_fma_f16 v46, v8, v40, v51
	;; [unrolled: 1-line block ×7, first 2 shown]
	v_mul_u32_u24_sdwa v41, v48, v37 dst_sel:DWORD dst_unused:UNUSED_PAD src0_sel:WORD_0 src1_sel:DWORD
	v_mul_u32_u24_sdwa v51, v49, v37 dst_sel:DWORD dst_unused:UNUSED_PAD src0_sel:WORD_0 src1_sel:DWORD
	v_mul_u32_u24_sdwa v49, v49, v37 dst_sel:DWORD dst_unused:UNUSED_PAD src0_sel:WORD_1 src1_sel:DWORD
	v_pk_fma_f16 v9, v9, v45, v38
	s_waitcnt lgkmcnt(0)
	s_lshl_b32 s18, s18, 6
	v_pk_fma_f16 v40, v10, v41, v43
	v_pk_fma_f16 v39, v10, v50, v46
	;; [unrolled: 1-line block ×8, first 2 shown]
	s_add_i32 s6, s18, s6
	s_cmp_ge_i32 s6, s30
	s_cbranch_scc1 .LBB21_51
; %bb.50:                               ;   in Loop: Header=BB21_17 Depth=1
	v_mov_b32_e32 v51, v1
	v_mov_b32_e32 v53, v2
	;; [unrolled: 1-line block ×8, first 2 shown]
	s_branch .LBB21_17
.LBB21_51:
	v_mov_b32_e32 v8, v27
.LBB21_52:
	v_cmp_lt_i32_e32 vcc_lo, v60, v28
	s_cmp_lg_u64 s[16:17], 0
	s_cselect_b32 s0, -1, 0
	s_cmp_eq_u32 s28, 0
	v_cndmask_b32_e32 v5, v8, v60, vcc_lo
	v_cmp_lt_i32_e32 vcc_lo, v59, v28
	s_cselect_b32 s1, -1, 0
	s_and_b32 s0, s1, s0
	v_lshlrev_b32_e32 v5, 2, v5
	v_cndmask_b32_e32 v12, v8, v59, vcc_lo
	v_cmp_lt_i32_e32 vcc_lo, v58, v28
	ds_bpermute_b32 v9, v5, v54
	ds_bpermute_b32 v10, v5, v55
	;; [unrolled: 1-line block ×4, first 2 shown]
	v_lshlrev_b32_e32 v12, 2, v12
	v_cndmask_b32_e32 v15, v8, v58, vcc_lo
	v_cmp_lt_i32_e32 vcc_lo, v57, v28
	v_lshlrev_b32_e32 v15, 2, v15
	s_waitcnt lgkmcnt(3)
	v_add_f32_e32 v9, v54, v9
	s_waitcnt lgkmcnt(2)
	v_add_f32_e32 v10, v55, v10
	;; [unrolled: 2-line block ×4, first 2 shown]
	ds_bpermute_b32 v6, v12, v9
	ds_bpermute_b32 v11, v12, v10
	ds_bpermute_b32 v14, v12, v7
	ds_bpermute_b32 v12, v12, v5
	s_waitcnt lgkmcnt(3)
	v_add_f32_e32 v6, v9, v6
	s_waitcnt lgkmcnt(2)
	v_add_f32_e32 v9, v10, v11
	;; [unrolled: 2-line block ×4, first 2 shown]
	ds_bpermute_b32 v10, v15, v6
	ds_bpermute_b32 v11, v15, v9
	;; [unrolled: 1-line block ×4, first 2 shown]
	v_cndmask_b32_e32 v15, v8, v57, vcc_lo
	v_cmp_lt_i32_e32 vcc_lo, v56, v28
	v_lshlrev_b32_e32 v15, 2, v15
	v_cndmask_b32_e32 v8, v8, v56, vcc_lo
	s_and_b32 vcc_lo, exec_lo, s0
	v_lshlrev_b32_e32 v8, 2, v8
	s_waitcnt lgkmcnt(3)
	v_add_f32_e32 v6, v6, v10
	s_waitcnt lgkmcnt(2)
	v_add_f32_e32 v9, v9, v11
	;; [unrolled: 2-line block ×4, first 2 shown]
	ds_bpermute_b32 v10, v15, v6
	ds_bpermute_b32 v11, v15, v9
	;; [unrolled: 1-line block ×4, first 2 shown]
	s_waitcnt lgkmcnt(3)
	v_add_f32_e32 v6, v6, v10
	s_waitcnt lgkmcnt(2)
	v_add_f32_e32 v9, v9, v11
	;; [unrolled: 2-line block ×4, first 2 shown]
	ds_bpermute_b32 v5, v8, v6
	ds_bpermute_b32 v11, v8, v9
	;; [unrolled: 1-line block ×4, first 2 shown]
	s_waitcnt lgkmcnt(3)
	v_add_f32_e32 v5, v6, v5
	s_waitcnt lgkmcnt(2)
	v_add_f32_e32 v6, v9, v11
	;; [unrolled: 2-line block ×4, first 2 shown]
	s_cbranch_vccz .LBB21_55
; %bb.53:
	v_add_nc_u32_e32 v9, s29, v23
	v_max_f32_e32 v14, v1, v1
	v_max_f32_e32 v15, v2, v2
	;; [unrolled: 1-line block ×4, first 2 shown]
	v_ashrrev_i32_e32 v10, 31, v9
	v_mov_b32_e32 v22, 0x10001
	v_lshlrev_b64 v[9:10], 2, v[9:10]
	v_add_co_u32 v9, vcc_lo, s16, v9
	v_add_co_ci_u32_e64 v10, null, s17, v10, vcc_lo
	global_load_dwordx4 v[9:12], v[9:10], off
	s_waitcnt vmcnt(0)
	v_max_f32_e32 v17, v9, v9
	v_max_f32_e32 v19, v10, v10
	v_max_f32_e32 v20, v11, v11
	v_max_f32_e32 v21, v12, v12
	v_max_f32_e32 v14, v14, v17
	v_max_f32_e32 v15, v15, v19
	v_max_f32_e32 v16, v16, v20
	v_max_f32_e32 v17, v18, v21
	v_sub_f32_e32 v18, v1, v14
	v_sub_f32_e32 v19, v2, v15
	;; [unrolled: 1-line block ×4, first 2 shown]
	v_mov_b32_e32 v1, v14
	v_sub_f32_e32 v9, v9, v14
	v_mov_b32_e32 v2, v15
	v_mov_b32_e32 v3, v16
	;; [unrolled: 1-line block ×3, first 2 shown]
	v_mul_f32_e32 v14, 0x3fb8aa3b, v18
	v_sub_f32_e32 v10, v10, v15
	v_mul_f32_e32 v15, 0x3fb8aa3b, v9
	v_sub_f32_e32 v11, v11, v16
	v_mul_f32_e32 v16, 0x3fb8aa3b, v19
	v_fma_f32 v29, 0x3fb8aa3b, v18, -v14
	v_rndne_f32_e32 v30, v14
	v_fma_f32 v31, 0x3fb8aa3b, v9, -v15
	v_rndne_f32_e32 v32, v15
	v_sub_f32_e32 v12, v12, v17
	v_fmac_f32_e32 v29, 0x32a5705f, v18
	v_sub_f32_e32 v14, v14, v30
	v_mul_f32_e32 v17, 0x3fb8aa3b, v10
	v_fma_f32 v33, 0x3fb8aa3b, v19, -v16
	v_rndne_f32_e32 v34, v16
	v_fmac_f32_e32 v31, 0x32a5705f, v9
	v_sub_f32_e32 v15, v15, v32
	v_add_f32_e32 v14, v14, v29
	v_mul_f32_e32 v25, 0x3fb8aa3b, v20
	v_fma_f32 v35, 0x3fb8aa3b, v10, -v17
	v_rndne_f32_e32 v36, v17
	v_fmac_f32_e32 v33, 0x32a5705f, v19
	v_sub_f32_e32 v16, v16, v34
	v_add_f32_e32 v15, v15, v31
	v_exp_f32_e32 v14, v14
	v_mul_f32_e32 v26, 0x3fb8aa3b, v11
	v_fma_f32 v37, 0x3fb8aa3b, v20, -v25
	v_rndne_f32_e32 v43, v25
	v_cvt_i32_f32_e32 v30, v30
	v_fmac_f32_e32 v35, 0x32a5705f, v10
	v_sub_f32_e32 v17, v17, v36
	v_add_f32_e32 v16, v16, v33
	v_exp_f32_e32 v15, v15
	v_mul_f32_e32 v27, 0x3fb8aa3b, v21
	v_fma_f32 v44, 0x3fb8aa3b, v11, -v26
	v_rndne_f32_e32 v46, v26
	v_cvt_i32_f32_e32 v32, v32
	v_fmac_f32_e32 v37, 0x32a5705f, v20
	v_sub_f32_e32 v25, v25, v43
	v_add_f32_e32 v17, v17, v35
	v_exp_f32_e32 v16, v16
	v_ldexp_f32 v14, v14, v30
	v_cmp_ngt_f32_e32 vcc_lo, 0xc2ce8ed0, v18
	v_mul_f32_e32 v28, 0x3fb8aa3b, v12
	v_fma_f32 v49, 0x3fb8aa3b, v21, -v27
	v_rndne_f32_e32 v50, v27
	v_cvt_i32_f32_e32 v34, v34
	v_fmac_f32_e32 v44, 0x32a5705f, v11
	v_sub_f32_e32 v26, v26, v46
	v_add_f32_e32 v25, v25, v37
	v_exp_f32_e32 v17, v17
	v_ldexp_f32 v15, v15, v32
	v_cndmask_b32_e32 v14, 0, v14, vcc_lo
	v_cmp_ngt_f32_e32 vcc_lo, 0xc2ce8ed0, v9
	v_fma_f32 v51, 0x3fb8aa3b, v12, -v28
	v_rndne_f32_e32 v52, v28
	v_cvt_i32_f32_e32 v36, v36
	v_fmac_f32_e32 v49, 0x32a5705f, v21
	v_sub_f32_e32 v27, v27, v50
	v_add_f32_e32 v26, v26, v44
	v_exp_f32_e32 v25, v25
	v_ldexp_f32 v16, v16, v34
	v_cndmask_b32_e32 v15, 0, v15, vcc_lo
	v_cmp_ngt_f32_e32 vcc_lo, 0xc2ce8ed0, v19
	v_cvt_i32_f32_e32 v43, v43
	v_fmac_f32_e32 v51, 0x32a5705f, v12
	v_sub_f32_e32 v28, v28, v52
	v_add_f32_e32 v27, v27, v49
	v_exp_f32_e32 v26, v26
	v_ldexp_f32 v17, v17, v36
	v_cndmask_b32_e32 v16, 0, v16, vcc_lo
	v_cmp_ngt_f32_e32 vcc_lo, 0xc2ce8ed0, v10
	v_cvt_i32_f32_e32 v46, v46
	v_add_f32_e32 v28, v28, v51
	v_exp_f32_e32 v27, v27
	v_ldexp_f32 v25, v25, v43
	v_cndmask_b32_e32 v17, 0, v17, vcc_lo
	v_cmp_ngt_f32_e32 vcc_lo, 0xc2ce8ed0, v20
	v_exp_f32_e32 v28, v28
	v_cvt_i32_f32_e32 v29, v50
	v_ldexp_f32 v26, v26, v46
	v_cvt_i32_f32_e32 v31, v52
	v_cndmask_b32_e32 v25, 0, v25, vcc_lo
	v_cmp_ngt_f32_e32 vcc_lo, 0xc2ce8ed0, v11
	v_ldexp_f32 v27, v27, v29
	v_cndmask_b32_e32 v26, 0, v26, vcc_lo
	v_cmp_ngt_f32_e32 vcc_lo, 0xc2ce8ed0, v21
	v_ldexp_f32 v28, v28, v31
	v_cndmask_b32_e32 v27, 0, v27, vcc_lo
	v_cmp_ngt_f32_e32 vcc_lo, 0xc2ce8ed0, v12
	v_cndmask_b32_e32 v28, 0, v28, vcc_lo
	v_cmp_nlt_f32_e32 vcc_lo, 0x42b17218, v18
	v_cndmask_b32_e32 v14, 0x7f800000, v14, vcc_lo
	v_cmp_nlt_f32_e32 vcc_lo, 0x42b17218, v9
	;; [unrolled: 2-line block ×3, first 2 shown]
	v_fmac_f32_e32 v9, v5, v14
	v_cndmask_b32_e32 v15, 0x7f800000, v16, vcc_lo
	v_cmp_nlt_f32_e32 vcc_lo, 0x42b17218, v10
	v_cvt_f16_f32_e32 v5, v14
	v_cndmask_b32_e32 v10, 0x7f800000, v17, vcc_lo
	v_cmp_nlt_f32_e32 vcc_lo, 0x42b17218, v20
	v_fmac_f32_e32 v10, v6, v15
	v_cndmask_b32_e32 v16, 0x7f800000, v25, vcc_lo
	v_cmp_nlt_f32_e32 vcc_lo, 0x42b17218, v11
	v_cvt_f16_f32_e32 v6, v15
	v_cndmask_b32_e32 v11, 0x7f800000, v26, vcc_lo
	v_cmp_nlt_f32_e32 vcc_lo, 0x42b17218, v21
	v_mul_u32_u24_sdwa v15, v6, v22 dst_sel:DWORD dst_unused:UNUSED_PAD src0_sel:WORD_0 src1_sel:DWORD
	v_mov_b32_e32 v6, v10
	v_fmac_f32_e32 v11, v7, v16
	v_cndmask_b32_e32 v17, 0x7f800000, v27, vcc_lo
	v_cmp_nlt_f32_e32 vcc_lo, 0x42b17218, v12
	v_cvt_f16_f32_e32 v7, v16
	v_pk_mul_f16 v39, v39, v15
	v_pk_mul_f16 v47, v47, v15
	v_cvt_f16_f32_e32 v14, v17
	v_cndmask_b32_e32 v12, 0x7f800000, v28, vcc_lo
	v_mul_u32_u24_sdwa v16, v7, v22 dst_sel:DWORD dst_unused:UNUSED_PAD src0_sel:WORD_0 src1_sel:DWORD
	v_mov_b32_e32 v7, v11
	v_mul_u32_u24_sdwa v14, v14, v22 dst_sel:DWORD dst_unused:UNUSED_PAD src0_sel:WORD_0 src1_sel:DWORD
	v_fmac_f32_e32 v12, v8, v17
	v_mul_u32_u24_sdwa v8, v5, v22 dst_sel:DWORD dst_unused:UNUSED_PAD src0_sel:WORD_0 src1_sel:DWORD
	v_mov_b32_e32 v5, v9
	v_pk_mul_f16 v38, v38, v16
	v_pk_mul_f16 v45, v45, v16
	v_pk_mul_f16 v42, v42, v14
	v_pk_mul_f16 v40, v40, v8
	v_pk_mul_f16 v48, v48, v8
	v_pk_mul_f16 v41, v41, v14
	v_mov_b32_e32 v8, v12
	s_mov_b32 s0, exec_lo
	v_cmpx_gt_i32_e64 s2, v13
	s_cbranch_execnz .LBB21_56
.LBB21_54:
	s_endpgm
.LBB21_55:
	v_mov_b32_e32 v12, v8
	v_mov_b32_e32 v11, v7
	;; [unrolled: 1-line block ×4, first 2 shown]
	s_mov_b32 s0, exec_lo
	v_cmpx_gt_i32_e64 s2, v13
	s_cbranch_execz .LBB21_54
.LBB21_56:
	s_load_dword s1, s[4:5], 0xd4
	v_mov_b32_e32 v15, 1.0
	s_waitcnt lgkmcnt(0)
	s_cmp_lg_u32 s1, 1
	s_cselect_b32 s5, -1, 0
	s_cmp_eq_u32 s1, 1
	s_cselect_b32 s4, -1, 0
	s_and_b32 vcc_lo, exec_lo, s5
	s_cbranch_vccnz .LBB21_58
; %bb.57:
	v_div_scale_f32 v14, null, v5, v5, 1.0
	v_rcp_f32_e32 v15, v14
	v_fma_f32 v16, -v14, v15, 1.0
	v_fmac_f32_e32 v15, v16, v15
	v_div_scale_f32 v16, vcc_lo, 1.0, v5, 1.0
	v_mul_f32_e32 v17, v16, v15
	v_fma_f32 v18, -v14, v17, v16
	v_fmac_f32_e32 v17, v18, v15
	v_fma_f32 v14, -v14, v17, v16
	v_div_fmas_f32 v14, v14, v15, v17
	v_div_fixup_f32 v15, v14, v5, 1.0
.LBB21_58:
	v_mad_u64_u32 v[13:14], null, s7, s2, v[13:14]
	v_mov_b32_e32 v17, 0
	v_cmp_eq_u32_e32 vcc_lo, 0, v0
	v_cvt_f32_f16_e32 v0, v40
	v_cvt_f32_f16_sdwa v19, v48 dst_sel:DWORD dst_unused:UNUSED_PAD src0_sel:WORD_1
	v_mul_lo_u32 v5, v13, s3
	v_mul_f32_e32 v19, v15, v19
	v_add3_u32 v5, s29, v23, v5
	v_mad_u64_u32 v[13:14], null, s1, v5, s[28:29]
	v_cvt_f32_f16_e32 v14, v48
	v_cvt_f32_f16_sdwa v5, v40 dst_sel:DWORD dst_unused:UNUSED_PAD src0_sel:WORD_1
	v_mul_f32_e32 v18, v15, v14
	v_lshl_add_u32 v16, v13, 7, v24
	v_lshlrev_b64 v[20:21], 2, v[16:17]
	v_mul_f32_e32 v16, v15, v0
	v_mul_f32_e32 v17, v15, v5
	v_add_co_u32 v14, s0, s20, v20
	v_add_co_ci_u32_e64 v15, null, s21, v21, s0
	s_and_b32 s0, vcc_lo, s5
	global_store_dwordx4 v[14:15], v[16:19], off
	s_and_saveexec_b32 s2, s0
	s_cbranch_execz .LBB21_60
; %bb.59:
	v_ashrrev_i32_e32 v14, 31, v13
	v_mov_b32_e32 v0, v1
	v_mov_b32_e32 v1, v9
	v_lshlrev_b64 v[14:15], 3, v[13:14]
	v_add_co_u32 v14, vcc_lo, s22, v14
	v_add_co_ci_u32_e64 v15, null, s23, v15, vcc_lo
	global_store_dwordx2 v[14:15], v[0:1], off
.LBB21_60:
	s_or_b32 exec_lo, exec_lo, s2
	v_cndmask_b32_e64 v5, 0, 1, s4
	v_mov_b32_e32 v1, 1.0
	s_andn2_b32 vcc_lo, exec_lo, s4
	s_cbranch_vccnz .LBB21_62
; %bb.61:
	v_div_scale_f32 v0, null, v6, v6, 1.0
	v_rcp_f32_e32 v1, v0
	v_fma_f32 v9, -v0, v1, 1.0
	v_fmac_f32_e32 v1, v9, v1
	v_div_scale_f32 v9, vcc_lo, 1.0, v6, 1.0
	v_mul_f32_e32 v14, v9, v1
	v_fma_f32 v15, -v0, v14, v9
	v_fmac_f32_e32 v14, v15, v1
	v_fma_f32 v0, -v0, v14, v9
	v_div_fmas_f32 v0, v0, v1, v14
	v_div_fixup_f32 v1, v0, v6, 1.0
.LBB21_62:
	v_add_nc_u32_e32 v0, s1, v13
	v_mov_b32_e32 v14, 0
	v_cvt_f32_f16_e32 v6, v39
	v_cvt_f32_f16_sdwa v9, v39 dst_sel:DWORD dst_unused:UNUSED_PAD src0_sel:WORD_1
	v_cvt_f32_f16_e32 v15, v47
	v_lshl_add_u32 v13, v0, 7, v24
	v_cvt_f32_f16_sdwa v16, v47 dst_sel:DWORD dst_unused:UNUSED_PAD src0_sel:WORD_1
	v_mul_f32_e32 v15, v1, v15
	v_lshlrev_b64 v[17:18], 2, v[13:14]
	v_mul_f32_e32 v13, v1, v6
	v_mul_f32_e32 v14, v1, v9
	;; [unrolled: 1-line block ×3, first 2 shown]
	v_add_co_u32 v17, vcc_lo, s20, v17
	v_add_co_ci_u32_e64 v18, null, s21, v18, vcc_lo
	global_store_dwordx4 v[17:18], v[13:16], off
	s_and_saveexec_b32 s2, s0
	s_cbranch_execz .LBB21_64
; %bb.63:
	v_ashrrev_i32_e32 v1, 31, v0
	v_mov_b32_e32 v9, v2
	v_lshlrev_b64 v[13:14], 3, v[0:1]
	v_add_co_u32 v13, vcc_lo, s22, v13
	v_add_co_ci_u32_e64 v14, null, s23, v14, vcc_lo
	global_store_dwordx2 v[13:14], v[9:10], off
.LBB21_64:
	s_or_b32 exec_lo, exec_lo, s2
	v_cmp_ne_u32_e32 vcc_lo, 1, v5
	v_mov_b32_e32 v1, 1.0
	s_cbranch_vccnz .LBB21_66
; %bb.65:
	v_div_scale_f32 v1, null, v7, v7, 1.0
	v_rcp_f32_e32 v2, v1
	v_fma_f32 v6, -v1, v2, 1.0
	v_fmac_f32_e32 v2, v6, v2
	v_div_scale_f32 v6, vcc_lo, 1.0, v7, 1.0
	v_mul_f32_e32 v9, v6, v2
	v_fma_f32 v10, -v1, v9, v6
	v_fmac_f32_e32 v9, v10, v2
	v_fma_f32 v1, -v1, v9, v6
	v_div_fmas_f32 v1, v1, v2, v9
	v_div_fixup_f32 v1, v1, v7, 1.0
.LBB21_66:
	v_add_nc_u32_e32 v0, s1, v0
	v_mov_b32_e32 v7, 0
	v_cvt_f32_f16_e32 v2, v38
	v_cvt_f32_f16_sdwa v9, v38 dst_sel:DWORD dst_unused:UNUSED_PAD src0_sel:WORD_1
	v_cvt_f32_f16_e32 v10, v45
	v_lshl_add_u32 v6, v0, 7, v24
	v_cvt_f32_f16_sdwa v16, v45 dst_sel:DWORD dst_unused:UNUSED_PAD src0_sel:WORD_1
	v_mul_f32_e32 v13, v1, v2
	v_mul_f32_e32 v14, v1, v9
	;; [unrolled: 1-line block ×3, first 2 shown]
	v_lshlrev_b64 v[6:7], 2, v[6:7]
	v_mul_f32_e32 v16, v1, v16
	v_add_co_u32 v1, vcc_lo, s20, v6
	v_add_co_ci_u32_e64 v2, null, s21, v7, vcc_lo
	global_store_dwordx4 v[1:2], v[13:16], off
	s_and_saveexec_b32 s2, s0
	s_cbranch_execz .LBB21_68
; %bb.67:
	v_ashrrev_i32_e32 v1, 31, v0
	v_mov_b32_e32 v10, v3
	v_lshlrev_b64 v[1:2], 3, v[0:1]
	v_add_co_u32 v1, vcc_lo, s22, v1
	v_add_co_ci_u32_e64 v2, null, s23, v2, vcc_lo
	global_store_dwordx2 v[1:2], v[10:11], off
.LBB21_68:
	s_or_b32 exec_lo, exec_lo, s2
	v_cmp_ne_u32_e32 vcc_lo, 1, v5
	v_mov_b32_e32 v1, 1.0
	s_cbranch_vccnz .LBB21_70
; %bb.69:
	v_div_scale_f32 v1, null, v8, v8, 1.0
	v_rcp_f32_e32 v2, v1
	v_fma_f32 v3, -v1, v2, 1.0
	v_fmac_f32_e32 v2, v3, v2
	v_div_scale_f32 v3, vcc_lo, 1.0, v8, 1.0
	v_mul_f32_e32 v5, v3, v2
	v_fma_f32 v6, -v1, v5, v3
	v_fmac_f32_e32 v5, v6, v2
	v_fma_f32 v1, -v1, v5, v3
	v_div_fmas_f32 v1, v1, v2, v5
	v_div_fixup_f32 v1, v1, v8, 1.0
.LBB21_70:
	v_add_nc_u32_e32 v0, s1, v0
	v_mov_b32_e32 v3, 0
	v_cvt_f32_f16_e32 v5, v42
	v_cvt_f32_f16_sdwa v6, v42 dst_sel:DWORD dst_unused:UNUSED_PAD src0_sel:WORD_1
	v_cvt_f32_f16_e32 v7, v41
	v_lshl_add_u32 v2, v0, 7, v24
	v_cvt_f32_f16_sdwa v8, v41 dst_sel:DWORD dst_unused:UNUSED_PAD src0_sel:WORD_1
	v_mul_f32_e32 v5, v1, v5
	v_mul_f32_e32 v6, v1, v6
	;; [unrolled: 1-line block ×3, first 2 shown]
	v_lshlrev_b64 v[2:3], 2, v[2:3]
	v_mul_f32_e32 v8, v1, v8
	v_add_co_u32 v1, vcc_lo, s20, v2
	v_add_co_ci_u32_e64 v2, null, s21, v3, vcc_lo
	global_store_dwordx4 v[1:2], v[5:8], off
	s_and_b32 exec_lo, exec_lo, s0
	s_cbranch_execz .LBB21_54
; %bb.71:
	v_ashrrev_i32_e32 v1, 31, v0
	v_mov_b32_e32 v11, v4
	v_lshlrev_b64 v[0:1], 3, v[0:1]
	v_add_co_u32 v0, vcc_lo, s22, v0
	v_add_co_ci_u32_e64 v1, null, s23, v1, vcc_lo
	global_store_dwordx2 v[0:1], v[11:12], off
	s_endpgm
	.section	.rodata,"a",@progbits
	.p2align	6, 0x0
	.amdhsa_kernel _ZL15flash_attn_tileILi192ELi128ELi4ELi8ELb1EEvPKcS1_S1_S1_S1_PKiPfP15HIP_vector_typeIfLj2EEffffjfiS5_IjLj3EEiiiiiiiiiiiliiliiiiil
		.amdhsa_group_segment_fixed_size 25600
		.amdhsa_private_segment_fixed_size 0
		.amdhsa_kernarg_size 464
		.amdhsa_user_sgpr_count 6
		.amdhsa_user_sgpr_private_segment_buffer 1
		.amdhsa_user_sgpr_dispatch_ptr 0
		.amdhsa_user_sgpr_queue_ptr 0
		.amdhsa_user_sgpr_kernarg_segment_ptr 1
		.amdhsa_user_sgpr_dispatch_id 0
		.amdhsa_user_sgpr_flat_scratch_init 0
		.amdhsa_user_sgpr_private_segment_size 0
		.amdhsa_wavefront_size32 1
		.amdhsa_uses_dynamic_stack 0
		.amdhsa_system_sgpr_private_segment_wavefront_offset 0
		.amdhsa_system_sgpr_workgroup_id_x 1
		.amdhsa_system_sgpr_workgroup_id_y 1
		.amdhsa_system_sgpr_workgroup_id_z 1
		.amdhsa_system_sgpr_workgroup_info 0
		.amdhsa_system_vgpr_workitem_id 1
		.amdhsa_next_free_vgpr 147
		.amdhsa_next_free_sgpr 40
		.amdhsa_reserve_vcc 1
		.amdhsa_reserve_flat_scratch 0
		.amdhsa_float_round_mode_32 0
		.amdhsa_float_round_mode_16_64 0
		.amdhsa_float_denorm_mode_32 3
		.amdhsa_float_denorm_mode_16_64 3
		.amdhsa_dx10_clamp 1
		.amdhsa_ieee_mode 1
		.amdhsa_fp16_overflow 0
		.amdhsa_workgroup_processor_mode 1
		.amdhsa_memory_ordered 1
		.amdhsa_forward_progress 1
		.amdhsa_shared_vgpr_count 0
		.amdhsa_exception_fp_ieee_invalid_op 0
		.amdhsa_exception_fp_denorm_src 0
		.amdhsa_exception_fp_ieee_div_zero 0
		.amdhsa_exception_fp_ieee_overflow 0
		.amdhsa_exception_fp_ieee_underflow 0
		.amdhsa_exception_fp_ieee_inexact 0
		.amdhsa_exception_int_div_zero 0
	.end_amdhsa_kernel
	.section	.text._ZL15flash_attn_tileILi192ELi128ELi4ELi8ELb1EEvPKcS1_S1_S1_S1_PKiPfP15HIP_vector_typeIfLj2EEffffjfiS5_IjLj3EEiiiiiiiiiiiliiliiiiil,"axG",@progbits,_ZL15flash_attn_tileILi192ELi128ELi4ELi8ELb1EEvPKcS1_S1_S1_S1_PKiPfP15HIP_vector_typeIfLj2EEffffjfiS5_IjLj3EEiiiiiiiiiiiliiliiiiil,comdat
.Lfunc_end21:
	.size	_ZL15flash_attn_tileILi192ELi128ELi4ELi8ELb1EEvPKcS1_S1_S1_S1_PKiPfP15HIP_vector_typeIfLj2EEffffjfiS5_IjLj3EEiiiiiiiiiiiliiliiiiil, .Lfunc_end21-_ZL15flash_attn_tileILi192ELi128ELi4ELi8ELb1EEvPKcS1_S1_S1_S1_PKiPfP15HIP_vector_typeIfLj2EEffffjfiS5_IjLj3EEiiiiiiiiiiiliiliiiiil
                                        ; -- End function
	.set _ZL15flash_attn_tileILi192ELi128ELi4ELi8ELb1EEvPKcS1_S1_S1_S1_PKiPfP15HIP_vector_typeIfLj2EEffffjfiS5_IjLj3EEiiiiiiiiiiiliiliiiiil.num_vgpr, 147
	.set _ZL15flash_attn_tileILi192ELi128ELi4ELi8ELb1EEvPKcS1_S1_S1_S1_PKiPfP15HIP_vector_typeIfLj2EEffffjfiS5_IjLj3EEiiiiiiiiiiiliiliiiiil.num_agpr, 0
	.set _ZL15flash_attn_tileILi192ELi128ELi4ELi8ELb1EEvPKcS1_S1_S1_S1_PKiPfP15HIP_vector_typeIfLj2EEffffjfiS5_IjLj3EEiiiiiiiiiiiliiliiiiil.numbered_sgpr, 40
	.set _ZL15flash_attn_tileILi192ELi128ELi4ELi8ELb1EEvPKcS1_S1_S1_S1_PKiPfP15HIP_vector_typeIfLj2EEffffjfiS5_IjLj3EEiiiiiiiiiiiliiliiiiil.num_named_barrier, 0
	.set _ZL15flash_attn_tileILi192ELi128ELi4ELi8ELb1EEvPKcS1_S1_S1_S1_PKiPfP15HIP_vector_typeIfLj2EEffffjfiS5_IjLj3EEiiiiiiiiiiiliiliiiiil.private_seg_size, 0
	.set _ZL15flash_attn_tileILi192ELi128ELi4ELi8ELb1EEvPKcS1_S1_S1_S1_PKiPfP15HIP_vector_typeIfLj2EEffffjfiS5_IjLj3EEiiiiiiiiiiiliiliiiiil.uses_vcc, 1
	.set _ZL15flash_attn_tileILi192ELi128ELi4ELi8ELb1EEvPKcS1_S1_S1_S1_PKiPfP15HIP_vector_typeIfLj2EEffffjfiS5_IjLj3EEiiiiiiiiiiiliiliiiiil.uses_flat_scratch, 0
	.set _ZL15flash_attn_tileILi192ELi128ELi4ELi8ELb1EEvPKcS1_S1_S1_S1_PKiPfP15HIP_vector_typeIfLj2EEffffjfiS5_IjLj3EEiiiiiiiiiiiliiliiiiil.has_dyn_sized_stack, 0
	.set _ZL15flash_attn_tileILi192ELi128ELi4ELi8ELb1EEvPKcS1_S1_S1_S1_PKiPfP15HIP_vector_typeIfLj2EEffffjfiS5_IjLj3EEiiiiiiiiiiiliiliiiiil.has_recursion, 0
	.set _ZL15flash_attn_tileILi192ELi128ELi4ELi8ELb1EEvPKcS1_S1_S1_S1_PKiPfP15HIP_vector_typeIfLj2EEffffjfiS5_IjLj3EEiiiiiiiiiiiliiliiiiil.has_indirect_call, 0
	.section	.AMDGPU.csdata,"",@progbits
; Kernel info:
; codeLenInByte = 33076
; TotalNumSgprs: 42
; NumVgprs: 147
; ScratchSize: 0
; MemoryBound: 0
; FloatMode: 240
; IeeeMode: 1
; LDSByteSize: 25600 bytes/workgroup (compile time only)
; SGPRBlocks: 0
; VGPRBlocks: 18
; NumSGPRsForWavesPerEU: 42
; NumVGPRsForWavesPerEU: 147
; Occupancy: 6
; WaveLimiterHint : 1
; COMPUTE_PGM_RSRC2:SCRATCH_EN: 0
; COMPUTE_PGM_RSRC2:USER_SGPR: 6
; COMPUTE_PGM_RSRC2:TRAP_HANDLER: 0
; COMPUTE_PGM_RSRC2:TGID_X_EN: 1
; COMPUTE_PGM_RSRC2:TGID_Y_EN: 1
; COMPUTE_PGM_RSRC2:TGID_Z_EN: 1
; COMPUTE_PGM_RSRC2:TIDIG_COMP_CNT: 1
	.section	.text._ZL15flash_attn_tileILi192ELi128ELi2ELi8ELb1EEvPKcS1_S1_S1_S1_PKiPfP15HIP_vector_typeIfLj2EEffffjfiS5_IjLj3EEiiiiiiiiiiiliiliiiiil,"axG",@progbits,_ZL15flash_attn_tileILi192ELi128ELi2ELi8ELb1EEvPKcS1_S1_S1_S1_PKiPfP15HIP_vector_typeIfLj2EEffffjfiS5_IjLj3EEiiiiiiiiiiiliiliiiiil,comdat
	.globl	_ZL15flash_attn_tileILi192ELi128ELi2ELi8ELb1EEvPKcS1_S1_S1_S1_PKiPfP15HIP_vector_typeIfLj2EEffffjfiS5_IjLj3EEiiiiiiiiiiiliiliiiiil ; -- Begin function _ZL15flash_attn_tileILi192ELi128ELi2ELi8ELb1EEvPKcS1_S1_S1_S1_PKiPfP15HIP_vector_typeIfLj2EEffffjfiS5_IjLj3EEiiiiiiiiiiiliiliiiiil
	.p2align	8
	.type	_ZL15flash_attn_tileILi192ELi128ELi2ELi8ELb1EEvPKcS1_S1_S1_S1_PKiPfP15HIP_vector_typeIfLj2EEffffjfiS5_IjLj3EEiiiiiiiiiiiliiliiiiil,@function
_ZL15flash_attn_tileILi192ELi128ELi2ELi8ELb1EEvPKcS1_S1_S1_S1_PKiPfP15HIP_vector_typeIfLj2EEffffjfiS5_IjLj3EEiiiiiiiiiiiliiliiiiil: ; @_ZL15flash_attn_tileILi192ELi128ELi2ELi8ELb1EEvPKcS1_S1_S1_S1_PKiPfP15HIP_vector_typeIfLj2EEffffjfiS5_IjLj3EEiiiiiiiiiiiliiliiiiil
; %bb.0:
	s_clause 0x1
	s_load_dwordx4 s[0:3], s[4:5], 0x5c
	s_load_dwordx2 s[30:31], s[4:5], 0x80
	s_mov_b32 s28, s7
	s_mov_b64 s[34:35], 0
	s_waitcnt lgkmcnt(0)
	s_ashr_i32 s7, s3, 31
	s_lshr_b32 s7, s7, 29
	s_add_i32 s7, s3, s7
	s_ashr_i32 s7, s7, 3
	v_cvt_f32_u32_e32 v2, s7
	s_sub_i32 s10, 0, s7
	v_rcp_iflag_f32_e32 v2, v2
	v_mul_f32_e32 v2, 0x4f7ffffe, v2
	v_cvt_u32_f32_e32 v2, v2
	v_readfirstlane_b32 s9, v2
	s_mul_i32 s10, s10, s9
	s_mul_hi_u32 s10, s9, s10
	s_add_i32 s9, s9, s10
	s_mul_hi_u32 s9, s8, s9
	s_mul_i32 s10, s9, s7
	s_add_i32 s11, s9, 1
	s_sub_i32 s10, s8, s10
	s_sub_i32 s12, s10, s7
	s_cmp_ge_u32 s10, s7
	s_cselect_b32 s9, s11, s9
	s_cselect_b32 s10, s12, s10
	s_add_i32 s11, s9, 1
	s_cmp_ge_u32 s10, s7
	s_cselect_b32 s29, s11, s9
	s_abs_i32 s7, s31
	s_lshl_b32 s8, s8, 3
	v_cvt_f32_u32_e32 v2, s7
	s_sub_i32 s10, 0, s7
	s_mul_i32 s11, s29, s3
	s_abs_i32 s12, s3
	s_sub_i32 s33, s8, s11
	v_rcp_iflag_f32_e32 v2, v2
	v_mul_f32_e32 v2, 0x4f7ffffe, v2
	v_cvt_u32_f32_e32 v2, v2
	v_readfirstlane_b32 s9, v2
	s_mul_i32 s10, s10, s9
	s_mul_hi_u32 s10, s9, s10
	s_add_i32 s9, s9, s10
	s_mul_hi_u32 s8, s12, s9
	s_xor_b32 s9, s3, s31
	s_mul_i32 s10, s8, s7
	s_ashr_i32 s9, s9, 31
	s_sub_i32 s10, s12, s10
	s_add_i32 s11, s8, 1
	s_sub_i32 s12, s10, s7
	s_cmp_ge_u32 s10, s7
	s_cselect_b32 s8, s11, s8
	s_cselect_b32 s10, s12, s10
	s_add_i32 s11, s8, 1
	s_cmp_ge_u32 s10, s7
	s_cselect_b32 s7, s11, s8
	s_xor_b32 s7, s7, s9
	s_sub_i32 s31, s7, s9
	s_clause 0x1
	s_load_dwordx16 s[8:23], s[4:5], 0x0
	s_load_dwordx2 s[36:37], s[4:5], 0xb8
	s_abs_i32 s7, s31
	v_cvt_f32_u32_e32 v2, s7
	v_rcp_iflag_f32_e32 v2, v2
	v_mul_f32_e32 v2, 0x4f7ffffe, v2
	s_waitcnt lgkmcnt(0)
	s_cmp_eq_u64 s[14:15], 0
	v_cvt_u32_f32_e32 v2, v2
	v_readfirstlane_b32 s38, v2
	s_cbranch_scc1 .LBB22_2
; %bb.1:
	s_abs_i32 s26, s36
	s_abs_i32 s27, s29
	v_cvt_f32_u32_e32 v2, s26
	s_sub_i32 s25, 0, s26
	v_rcp_iflag_f32_e32 v2, v2
	v_mul_f32_e32 v2, 0x4f7ffffe, v2
	v_cvt_u32_f32_e32 v2, v2
	v_readfirstlane_b32 s24, v2
	s_mul_i32 s25, s25, s24
	s_mul_hi_u32 s25, s24, s25
	s_add_i32 s24, s24, s25
	s_mul_hi_u32 s34, s27, s24
	s_load_dwordx2 s[24:25], s[4:5], 0xc8
	s_mul_i32 s34, s34, s26
	s_sub_i32 s27, s27, s34
	s_ashr_i32 s34, s29, 31
	s_sub_i32 s35, s27, s26
	s_cmp_ge_u32 s27, s26
	s_cselect_b32 s27, s35, s27
	s_sub_i32 s35, s27, s26
	s_cmp_ge_u32 s27, s26
	s_cselect_b32 s26, s35, s27
	s_xor_b32 s26, s26, s34
	s_sub_i32 s26, s26, s34
	s_ashr_i32 s27, s26, 31
	s_waitcnt lgkmcnt(0)
	s_mul_hi_u32 s34, s24, s26
	s_mul_i32 s27, s24, s27
	s_mul_i32 s25, s25, s26
	s_add_i32 s27, s34, s27
	s_mul_i32 s24, s24, s26
	s_add_i32 s27, s27, s25
	s_add_u32 s34, s14, s24
	s_addc_u32 s35, s15, s27
.LBB22_2:
	v_lshrrev_b32_e32 v2, 2, v1
	s_load_dwordx4 s[24:27], s[4:5], 0x70
	v_lshlrev_b32_e32 v12, 1, v1
	v_lshl_add_u32 v2, s6, 1, v2
	v_and_b32_e32 v10, 6, v12
	v_mul_hi_u32 v3, s0, v2
	v_add_nc_u32_e32 v3, v2, v3
	s_waitcnt lgkmcnt(0)
	s_mul_i32 s0, s29, s26
	s_mov_b32 s14, s25
	v_lshrrev_b32_e32 v3, s1, v3
	s_mul_i32 s1, s33, s25
	s_ashr_i32 s15, s0, 31
	s_add_u32 s0, s8, s0
	s_addc_u32 s8, s9, s15
	v_mul_lo_u32 v3, v3, s2
	s_ashr_i32 s9, s1, 31
	s_add_u32 s26, s0, s1
	s_addc_u32 s8, s8, s9
	s_ashr_i32 s15, s25, 31
	s_ashr_i32 s25, s24, 31
	s_lshr_b64 s[0:1], s[24:25], 2
	v_sub_nc_u32_e32 v5, v2, v3
	s_lshr_b32 s9, s25, 2
	v_mad_u64_u32 v[3:4], null, s0, v5, 0
	s_lshr_b64 s[0:1], s[14:15], 2
	v_mad_u64_u32 v[6:7], null, s0, v10, 0
	v_mad_u64_u32 v[8:9], null, s9, v5, v[4:5]
	s_lshr_b32 s9, s15, 2
	v_mov_b32_e32 v4, v8
	v_mad_u64_u32 v[7:8], null, s9, v10, v[7:8]
	v_lshlrev_b32_e32 v8, 4, v0
	v_lshlrev_b64 v[3:4], 2, v[3:4]
	v_add_co_u32 v9, vcc_lo, s26, v3
	v_add_co_ci_u32_e64 v11, null, s8, v4, vcc_lo
	v_lshlrev_b64 v[3:4], 2, v[6:7]
	v_add_co_u32 v8, vcc_lo, v9, v8
	v_add_co_ci_u32_e64 v9, null, 0, v11, vcc_lo
	s_load_dword s8, s[4:5], 0x40
	v_add_co_u32 v3, vcc_lo, v8, v3
	v_add_co_ci_u32_e64 v4, null, v9, v4, vcc_lo
	v_cmp_gt_u32_e32 vcc_lo, 16, v0
	global_load_dwordx4 v[13:16], v[3:4], off
	s_waitcnt vmcnt(0) lgkmcnt(0)
	v_fma_mixlo_f16 v6, s8, v14, 0
	v_fma_mixlo_f16 v7, s8, v13, 0
	;; [unrolled: 1-line block ×4, first 2 shown]
	v_lshlrev_b32_e32 v14, 16, v6
	v_and_b32_e32 v7, 0xffff, v7
	v_lshlrev_b32_e32 v6, 3, v0
	v_lshlrev_b32_e32 v13, 16, v13
	v_and_b32_e32 v11, 0xffff, v11
	v_or_b32_e32 v15, v14, v7
	v_mul_u32_u24_e32 v7, 0x300, v1
	v_mad_u32_u24 v16, 0x300, v1, v6
	v_or3_b32 v14, v13, v11, 0
	v_or3_b32 v13, 0, 0, v15
	ds_write_b64 v16, v[13:14]
	s_and_saveexec_b32 s9, vcc_lo
	s_cbranch_execz .LBB22_4
; %bb.3:
	global_load_dwordx4 v[13:16], v[3:4], off offset:512
	s_waitcnt vmcnt(0)
	v_fma_mixlo_f16 v3, s8, v14, 0
	v_fma_mixlo_f16 v4, s8, v13, 0
	;; [unrolled: 1-line block ×4, first 2 shown]
	v_lshlrev_b32_e32 v3, 16, v3
	v_and_b32_e32 v4, 0xffff, v4
	v_and_b32_e32 v11, 0xffff, v11
	v_lshlrev_b32_e32 v13, 16, v13
	v_or_b32_e32 v3, v3, v4
	v_or3_b32 v4, v13, v11, 0
	v_add_nc_u32_e32 v11, v6, v7
	v_or3_b32 v3, 0, 0, v3
	ds_write_b64 v11, v[3:4] offset:256
.LBB22_4:
	s_or_b32 exec_lo, exec_lo, s9
	v_or_b32_e32 v11, 1, v12
	v_and_b32_e32 v13, 7, v11
	v_mad_u64_u32 v[3:4], null, s0, v13, 0
	v_mad_u64_u32 v[13:14], null, s1, v13, v[4:5]
	v_mov_b32_e32 v4, v13
	v_lshlrev_b64 v[3:4], 2, v[3:4]
	v_add_co_u32 v3, s0, v8, v3
	v_add_co_ci_u32_e64 v4, null, v9, v4, s0
	global_load_dwordx4 v[13:16], v[3:4], off
	s_waitcnt vmcnt(0)
	v_fma_mixlo_f16 v8, s8, v14, 0
	v_fma_mixlo_f16 v9, s8, v13, 0
	;; [unrolled: 1-line block ×4, first 2 shown]
	v_mad_u32_u24 v15, 0x180, v11, v6
	v_lshlrev_b32_e32 v8, 16, v8
	v_and_b32_e32 v9, 0xffff, v9
	v_and_b32_e32 v13, 0xffff, v13
	v_lshlrev_b32_e32 v14, 16, v14
	v_or_b32_e32 v8, v8, v9
	v_or3_b32 v9, v14, v13, 0
	v_or3_b32 v8, 0, 0, v8
	ds_write_b64 v15, v[8:9]
	s_and_saveexec_b32 s0, vcc_lo
	s_cbranch_execz .LBB22_6
; %bb.5:
	global_load_dwordx4 v[13:16], v[3:4], off offset:512
	v_mul_u32_u24_e32 v11, 0x180, v11
	s_waitcnt vmcnt(0)
	v_fma_mixlo_f16 v3, s8, v14, 0
	v_fma_mixlo_f16 v4, s8, v13, 0
	;; [unrolled: 1-line block ×4, first 2 shown]
	v_lshlrev_b32_e32 v3, 16, v3
	v_and_b32_e32 v4, 0xffff, v4
	v_and_b32_e32 v8, 0xffff, v8
	v_lshlrev_b32_e32 v9, 16, v9
	v_or_b32_e32 v3, v3, v4
	v_or3_b32 v4, v9, v8, 0
	v_add_nc_u32_e32 v8, v6, v11
	v_or3_b32 v3, 0, 0, v3
	ds_write_b64 v8, v[3:4] offset:256
.LBB22_6:
	s_or_b32 exec_lo, exec_lo, s0
	s_cmp_eq_u64 s[18:19], 0
	s_waitcnt lgkmcnt(0)
	s_barrier
	buffer_gl0_inv
	s_cbranch_scc1 .LBB22_8
; %bb.7:
	s_load_dword s0, s[4:5], 0xd0
	s_mov_b32 s1, 0
	s_waitcnt lgkmcnt(0)
	s_mul_i32 s0, s0, s29
	s_add_i32 s0, s0, s6
	s_lshl_b64 s[0:1], s[0:1], 2
	s_add_u32 s0, s18, s0
	s_addc_u32 s1, s19, s1
	s_load_dword s30, s[0:1], 0x0
.LBB22_8:
	v_mbcnt_lo_u32_b32 v8, -1, 0
	s_lshl_b32 s8, s28, 5
	s_waitcnt lgkmcnt(0)
	s_cmp_lt_i32 s8, s30
	s_cbranch_scc1 .LBB22_11
; %bb.9:
	v_mbcnt_lo_u32_b32 v3, -1, 0
	v_mov_b32_e32 v9, 32
	v_xor_b32_e32 v31, 16, v3
	v_xor_b32_e32 v27, 8, v3
	;; [unrolled: 1-line block ×5, first 2 shown]
	v_lshlrev_b32_e32 v11, 2, v0
	s_cbranch_execz .LBB22_12
; %bb.10:
	v_mov_b32_e32 v22, 0
	v_mov_b32_e32 v33, 0
	;; [unrolled: 1-line block ×8, first 2 shown]
	s_branch .LBB22_24
.LBB22_11:
                                        ; implicit-def: $vgpr3
                                        ; implicit-def: $vgpr9
                                        ; implicit-def: $vgpr31
                                        ; implicit-def: $vgpr27
                                        ; implicit-def: $vgpr28
                                        ; implicit-def: $vgpr29
                                        ; implicit-def: $vgpr30
	v_lshlrev_b32_e32 v11, 2, v0
.LBB22_12:
	s_clause 0x1
	s_load_dwordx4 s[24:27], s[4:5], 0x98
	s_load_dwordx2 s[0:1], s[4:5], 0x8c
	s_sub_i32 s6, 0, s7
	s_abs_i32 s15, s33
	s_mul_i32 s6, s6, s38
	v_lshrrev_b32_e32 v3, 3, v0
	s_mul_hi_u32 s6, s38, s6
	s_ashr_i32 s36, s33, 31
	s_add_i32 s38, s38, s6
	s_ashr_i32 s31, s31, 31
	s_mul_hi_u32 s6, s15, s38
	s_ashr_i32 s38, s29, 31
	v_lshl_add_u32 v9, v1, 2, v3
	s_ashr_i32 s37, s37, 1
	s_load_dwordx2 s[18:19], s[4:5], 0xa8
	s_mul_i32 s39, s6, s7
	v_lshrrev_b32_e32 v13, 4, v0
	v_and_b32_e32 v14, 28, v11
	v_mov_b32_e32 v25, 0
	v_mov_b32_e32 v32, 0xfeffffff
	s_waitcnt lgkmcnt(0)
	s_ashr_i32 s9, s26, 2
	s_ashr_i32 s14, s0, 2
	s_mul_hi_u32 s0, s24, s29
	s_mul_i32 s26, s24, s38
	s_mul_i32 s25, s25, s29
	s_add_i32 s0, s0, s26
	s_mul_i32 s24, s24, s29
	s_add_i32 s0, s0, s25
	s_add_u32 s24, s10, s24
	s_addc_u32 s0, s11, s0
	s_sub_i32 s10, s15, s39
	s_xor_b32 s11, s36, s31
	s_add_i32 s15, s6, 1
	s_sub_i32 s25, s10, s7
	v_mul_lo_u32 v3, s14, v9
	s_cmp_ge_u32 s10, s7
	v_add_nc_u32_e32 v12, v13, v12
	s_cselect_b32 s6, s15, s6
	s_cselect_b32 s10, s25, s10
	s_add_i32 s15, s6, 1
	s_cmp_ge_u32 s10, s7
	v_mul_lo_u32 v17, s9, v12
	s_cselect_b32 s6, s15, s6
	v_ashrrev_i32_e32 v4, 31, v3
	s_xor_b32 s6, s6, s11
	v_mul_u32_u24_e32 v9, 0x90, v9
	s_sub_i32 s6, s6, s11
	v_lshlrev_b32_e32 v14, 2, v14
	v_lshlrev_b64 v[3:4], 2, v[3:4]
	s_mul_i32 s1, s6, s1
	v_ashrrev_i32_e32 v18, 31, v17
	s_load_dword s10, s[4:5], 0x54
	s_mul_i32 s15, s19, s29
	s_ashr_i32 s19, s1, 31
	s_mul_hi_u32 s7, s18, s29
	s_mul_i32 s11, s18, s38
	s_add_u32 s1, s24, s1
	v_add3_u32 v13, v9, v14, 0x1800
	v_and_b32_e32 v9, 60, v11
	s_addc_u32 s0, s0, s19
	s_add_i32 s7, s7, s11
	v_add_co_u32 v3, vcc_lo, s1, v3
	s_mul_i32 s11, s18, s29
	v_lshlrev_b64 v[17:18], 2, v[17:18]
	s_add_i32 s7, s7, s15
	s_mul_i32 s6, s6, s27
	v_add_co_ci_u32_e64 v4, null, s0, v4, vcc_lo
	s_add_u32 s11, s12, s11
	s_addc_u32 s7, s13, s7
	s_ashr_i32 s12, s6, 31
	v_lshlrev_b32_e32 v9, 2, v9
	s_add_u32 s6, s11, s6
	v_add_co_u32 v14, vcc_lo, v3, v14
	s_addc_u32 s7, s7, s12
	v_add_co_ci_u32_e64 v15, null, 0, v4, vcc_lo
	v_mad_u64_u32 v[3:4], null, v5, s37, v[0:1]
	v_add_co_u32 v5, vcc_lo, s6, v17
	v_lshl_or_b32 v4, v12, 8, v9
	v_add_co_ci_u32_e64 v12, null, s7, v18, vcc_lo
	s_movk_i32 s11, 0x1800
	v_add_co_u32 v19, vcc_lo, v5, v9
	v_mad_u32_u24 v16, 0x90, v0, s11
	v_lshl_add_u32 v1, v1, 7, 0x2a00
	v_add_nc_u32_e32 v18, 0x1800, v4
	v_add_co_ci_u32_e64 v20, null, 0, v12, vcc_lo
	v_mov_b32_e32 v17, 0
	v_mov_b32_e32 v9, 32
	;; [unrolled: 1-line block ×8, first 2 shown]
	s_add_u32 s0, s4, 0xd0
	s_addc_u32 s1, s5, 0
	s_mov_b32 s11, 0xbbbac73d
.LBB22_13:                              ; =>This Inner Loop Header: Depth=1
	s_mul_hi_i32 s7, s8, s14
	s_mul_i32 s6, s8, s14
	v_mov_b32_e32 v33, 0
	s_lshl_b64 s[6:7], s[6:7], 2
	v_add_co_u32 v4, vcc_lo, v14, s6
	v_add_co_ci_u32_e64 v5, null, s7, v15, vcc_lo
	global_load_dwordx4 v[27:30], v[4:5], off
	s_waitcnt vmcnt(0)
	ds_write_b128 v13, v[27:30]
	s_waitcnt lgkmcnt(0)
	s_barrier
	buffer_gl0_inv
	ds_read_b128 v[28:31], v16
	ds_read_b128 v[34:37], v7
	ds_read_b128 v[38:41], v7 offset:384
	v_mov_b32_e32 v27, 0
	s_waitcnt lgkmcnt(1)
	;;#ASMSTART
	v_dot2_f32_f16 v27, v28, v34, v27
	;;#ASMEND
	;;#ASMSTART
	v_dot2_f32_f16 v27, v29, v35, v27
	;;#ASMEND
	;;#ASMSTART
	v_dot2_f32_f16 v27, v30, v36, v27
	;;#ASMEND
	;;#ASMSTART
	v_dot2_f32_f16 v27, v31, v37, v27
	;;#ASMEND
	s_waitcnt lgkmcnt(0)
	;;#ASMSTART
	v_dot2_f32_f16 v33, v28, v38, v33
	;;#ASMEND
	;;#ASMSTART
	v_dot2_f32_f16 v33, v29, v39, v33
	;;#ASMEND
	;;#ASMSTART
	v_dot2_f32_f16 v33, v30, v40, v33
	;;#ASMEND
	;;#ASMSTART
	v_dot2_f32_f16 v33, v31, v41, v33
	;;#ASMEND
	ds_read_b128 v[28:31], v16 offset:16
	ds_read_b128 v[34:37], v7 offset:16
	ds_read_b128 v[38:41], v7 offset:400
	s_waitcnt lgkmcnt(1)
	;;#ASMSTART
	v_dot2_f32_f16 v27, v28, v34, v27
	;;#ASMEND
	;;#ASMSTART
	v_dot2_f32_f16 v27, v29, v35, v27
	;;#ASMEND
	;;#ASMSTART
	v_dot2_f32_f16 v27, v30, v36, v27
	;;#ASMEND
	;;#ASMSTART
	v_dot2_f32_f16 v27, v31, v37, v27
	;;#ASMEND
	s_waitcnt lgkmcnt(0)
	;;#ASMSTART
	v_dot2_f32_f16 v33, v28, v38, v33
	;;#ASMEND
	;;#ASMSTART
	v_dot2_f32_f16 v33, v29, v39, v33
	;;#ASMEND
	;;#ASMSTART
	v_dot2_f32_f16 v33, v30, v40, v33
	;;#ASMEND
	;;#ASMSTART
	v_dot2_f32_f16 v33, v31, v41, v33
	;;#ASMEND
	ds_read_b128 v[28:31], v16 offset:32
	ds_read_b128 v[34:37], v7 offset:32
	ds_read_b128 v[38:41], v7 offset:416
	;; [unrolled: 29-line block ×7, first 2 shown]
	s_waitcnt lgkmcnt(1)
	;;#ASMSTART
	v_dot2_f32_f16 v27, v28, v34, v27
	;;#ASMEND
	;;#ASMSTART
	v_dot2_f32_f16 v27, v29, v35, v27
	;;#ASMEND
	;; [unrolled: 3-line block ×4, first 2 shown]
	s_waitcnt lgkmcnt(0)
	;;#ASMSTART
	v_dot2_f32_f16 v33, v28, v38, v33
	;;#ASMEND
	;;#ASMSTART
	v_dot2_f32_f16 v33, v29, v39, v33
	;;#ASMEND
	;; [unrolled: 3-line block ×4, first 2 shown]
	s_barrier
	buffer_gl0_inv
	global_load_dwordx4 v[28:31], v[4:5], off offset:128
	s_waitcnt vmcnt(0)
	ds_write_b128 v13, v[28:31]
	s_waitcnt lgkmcnt(0)
	s_barrier
	buffer_gl0_inv
	ds_read_b128 v[28:31], v16
	ds_read_b128 v[34:37], v7 offset:128
	ds_read_b128 v[38:41], v7 offset:512
	s_waitcnt lgkmcnt(1)
	;;#ASMSTART
	v_dot2_f32_f16 v27, v28, v34, v27
	;;#ASMEND
	;;#ASMSTART
	v_dot2_f32_f16 v27, v29, v35, v27
	;;#ASMEND
	;;#ASMSTART
	v_dot2_f32_f16 v27, v30, v36, v27
	;;#ASMEND
	;;#ASMSTART
	v_dot2_f32_f16 v27, v31, v37, v27
	;;#ASMEND
	s_waitcnt lgkmcnt(0)
	;;#ASMSTART
	v_dot2_f32_f16 v33, v28, v38, v33
	;;#ASMEND
	;;#ASMSTART
	v_dot2_f32_f16 v33, v29, v39, v33
	;;#ASMEND
	;;#ASMSTART
	v_dot2_f32_f16 v33, v30, v40, v33
	;;#ASMEND
	;;#ASMSTART
	v_dot2_f32_f16 v33, v31, v41, v33
	;;#ASMEND
	ds_read_b128 v[28:31], v16 offset:16
	ds_read_b128 v[34:37], v7 offset:144
	ds_read_b128 v[38:41], v7 offset:528
	s_waitcnt lgkmcnt(1)
	;;#ASMSTART
	v_dot2_f32_f16 v27, v28, v34, v27
	;;#ASMEND
	;;#ASMSTART
	v_dot2_f32_f16 v27, v29, v35, v27
	;;#ASMEND
	;;#ASMSTART
	v_dot2_f32_f16 v27, v30, v36, v27
	;;#ASMEND
	;;#ASMSTART
	v_dot2_f32_f16 v27, v31, v37, v27
	;;#ASMEND
	s_waitcnt lgkmcnt(0)
	;;#ASMSTART
	v_dot2_f32_f16 v33, v28, v38, v33
	;;#ASMEND
	;;#ASMSTART
	v_dot2_f32_f16 v33, v29, v39, v33
	;;#ASMEND
	;;#ASMSTART
	v_dot2_f32_f16 v33, v30, v40, v33
	;;#ASMEND
	;;#ASMSTART
	v_dot2_f32_f16 v33, v31, v41, v33
	;;#ASMEND
	ds_read_b128 v[28:31], v16 offset:32
	;; [unrolled: 29-line block ×7, first 2 shown]
	ds_read_b128 v[34:37], v7 offset:240
	ds_read_b128 v[38:41], v7 offset:624
	s_waitcnt lgkmcnt(1)
	;;#ASMSTART
	v_dot2_f32_f16 v27, v28, v34, v27
	;;#ASMEND
	;;#ASMSTART
	v_dot2_f32_f16 v27, v29, v35, v27
	;;#ASMEND
	;; [unrolled: 3-line block ×4, first 2 shown]
	s_waitcnt lgkmcnt(0)
	;;#ASMSTART
	v_dot2_f32_f16 v33, v28, v38, v33
	;;#ASMEND
	;;#ASMSTART
	v_dot2_f32_f16 v33, v29, v39, v33
	;;#ASMEND
	;; [unrolled: 3-line block ×4, first 2 shown]
	s_barrier
	buffer_gl0_inv
	global_load_dwordx4 v[28:31], v[4:5], off offset:256
	v_add_nc_u32_e32 v4, s8, v3
	v_ashrrev_i32_e32 v5, 31, v4
	v_lshlrev_b64 v[4:5], 1, v[4:5]
	v_add_co_u32 v4, vcc_lo, s34, v4
	v_add_co_ci_u32_e64 v5, null, s35, v5, vcc_lo
	s_waitcnt vmcnt(0)
	ds_write_b128 v13, v[28:31]
	s_waitcnt lgkmcnt(0)
	s_barrier
	buffer_gl0_inv
	ds_read_b128 v[28:31], v16
	ds_read_b128 v[34:37], v7 offset:256
	ds_read_b128 v[38:41], v7 offset:640
	s_waitcnt lgkmcnt(1)
	;;#ASMSTART
	v_dot2_f32_f16 v27, v28, v34, v27
	;;#ASMEND
	;;#ASMSTART
	v_dot2_f32_f16 v27, v29, v35, v27
	;;#ASMEND
	;;#ASMSTART
	v_dot2_f32_f16 v27, v30, v36, v27
	;;#ASMEND
	;;#ASMSTART
	v_dot2_f32_f16 v27, v31, v37, v27
	;;#ASMEND
	s_waitcnt lgkmcnt(0)
	;;#ASMSTART
	v_dot2_f32_f16 v33, v28, v38, v33
	;;#ASMEND
	;;#ASMSTART
	v_dot2_f32_f16 v33, v29, v39, v33
	;;#ASMEND
	;;#ASMSTART
	v_dot2_f32_f16 v33, v30, v40, v33
	;;#ASMEND
	;;#ASMSTART
	v_dot2_f32_f16 v33, v31, v41, v33
	;;#ASMEND
	ds_read_b128 v[28:31], v16 offset:16
	ds_read_b128 v[34:37], v7 offset:272
	ds_read_b128 v[38:41], v7 offset:656
	s_waitcnt lgkmcnt(1)
	;;#ASMSTART
	v_dot2_f32_f16 v27, v28, v34, v27
	;;#ASMEND
	;;#ASMSTART
	v_dot2_f32_f16 v27, v29, v35, v27
	;;#ASMEND
	;;#ASMSTART
	v_dot2_f32_f16 v27, v30, v36, v27
	;;#ASMEND
	;;#ASMSTART
	v_dot2_f32_f16 v27, v31, v37, v27
	;;#ASMEND
	s_waitcnt lgkmcnt(0)
	;;#ASMSTART
	v_dot2_f32_f16 v33, v28, v38, v33
	;;#ASMEND
	;;#ASMSTART
	v_dot2_f32_f16 v33, v29, v39, v33
	;;#ASMEND
	;;#ASMSTART
	v_dot2_f32_f16 v33, v30, v40, v33
	;;#ASMEND
	;;#ASMSTART
	v_dot2_f32_f16 v33, v31, v41, v33
	;;#ASMEND
	ds_read_b128 v[28:31], v16 offset:32
	ds_read_b128 v[34:37], v7 offset:288
	ds_read_b128 v[38:41], v7 offset:672
	s_waitcnt lgkmcnt(1)
	;;#ASMSTART
	v_dot2_f32_f16 v27, v28, v34, v27
	;;#ASMEND
	;;#ASMSTART
	v_dot2_f32_f16 v27, v29, v35, v27
	;;#ASMEND
	;;#ASMSTART
	v_dot2_f32_f16 v27, v30, v36, v27
	;;#ASMEND
	;;#ASMSTART
	v_dot2_f32_f16 v27, v31, v37, v27
	;;#ASMEND
	s_waitcnt lgkmcnt(0)
	;;#ASMSTART
	v_dot2_f32_f16 v33, v28, v38, v33
	;;#ASMEND
	;;#ASMSTART
	v_dot2_f32_f16 v33, v29, v39, v33
	;;#ASMEND
	;;#ASMSTART
	v_dot2_f32_f16 v33, v30, v40, v33
	;;#ASMEND
	;;#ASMSTART
	v_dot2_f32_f16 v33, v31, v41, v33
	;;#ASMEND
	ds_read_b128 v[28:31], v16 offset:48
	ds_read_b128 v[34:37], v7 offset:304
	ds_read_b128 v[38:41], v7 offset:688
	s_waitcnt lgkmcnt(1)
	;;#ASMSTART
	v_dot2_f32_f16 v27, v28, v34, v27
	;;#ASMEND
	;;#ASMSTART
	v_dot2_f32_f16 v27, v29, v35, v27
	;;#ASMEND
	;;#ASMSTART
	v_dot2_f32_f16 v27, v30, v36, v27
	;;#ASMEND
	;;#ASMSTART
	v_dot2_f32_f16 v27, v31, v37, v27
	;;#ASMEND
	s_waitcnt lgkmcnt(0)
	;;#ASMSTART
	v_dot2_f32_f16 v33, v28, v38, v33
	;;#ASMEND
	;;#ASMSTART
	v_dot2_f32_f16 v33, v29, v39, v33
	;;#ASMEND
	;;#ASMSTART
	v_dot2_f32_f16 v33, v30, v40, v33
	;;#ASMEND
	;;#ASMSTART
	v_dot2_f32_f16 v33, v31, v41, v33
	;;#ASMEND
	ds_read_b128 v[28:31], v16 offset:64
	ds_read_b128 v[34:37], v7 offset:320
	ds_read_b128 v[38:41], v7 offset:704
	s_waitcnt lgkmcnt(1)
	;;#ASMSTART
	v_dot2_f32_f16 v27, v28, v34, v27
	;;#ASMEND
	;;#ASMSTART
	v_dot2_f32_f16 v27, v29, v35, v27
	;;#ASMEND
	;;#ASMSTART
	v_dot2_f32_f16 v27, v30, v36, v27
	;;#ASMEND
	;;#ASMSTART
	v_dot2_f32_f16 v27, v31, v37, v27
	;;#ASMEND
	s_waitcnt lgkmcnt(0)
	;;#ASMSTART
	v_dot2_f32_f16 v33, v28, v38, v33
	;;#ASMEND
	;;#ASMSTART
	v_dot2_f32_f16 v33, v29, v39, v33
	;;#ASMEND
	;;#ASMSTART
	v_dot2_f32_f16 v33, v30, v40, v33
	;;#ASMEND
	;;#ASMSTART
	v_dot2_f32_f16 v33, v31, v41, v33
	;;#ASMEND
	ds_read_b128 v[28:31], v16 offset:80
	ds_read_b128 v[34:37], v7 offset:336
	ds_read_b128 v[38:41], v7 offset:720
	s_waitcnt lgkmcnt(1)
	;;#ASMSTART
	v_dot2_f32_f16 v27, v28, v34, v27
	;;#ASMEND
	;;#ASMSTART
	v_dot2_f32_f16 v27, v29, v35, v27
	;;#ASMEND
	;;#ASMSTART
	v_dot2_f32_f16 v27, v30, v36, v27
	;;#ASMEND
	;;#ASMSTART
	v_dot2_f32_f16 v27, v31, v37, v27
	;;#ASMEND
	s_waitcnt lgkmcnt(0)
	;;#ASMSTART
	v_dot2_f32_f16 v33, v28, v38, v33
	;;#ASMEND
	;;#ASMSTART
	v_dot2_f32_f16 v33, v29, v39, v33
	;;#ASMEND
	;;#ASMSTART
	v_dot2_f32_f16 v33, v30, v40, v33
	;;#ASMEND
	;;#ASMSTART
	v_dot2_f32_f16 v33, v31, v41, v33
	;;#ASMEND
	ds_read_b128 v[28:31], v16 offset:96
	ds_read_b128 v[34:37], v7 offset:352
	ds_read_b128 v[38:41], v7 offset:736
	s_waitcnt lgkmcnt(1)
	;;#ASMSTART
	v_dot2_f32_f16 v27, v28, v34, v27
	;;#ASMEND
	;;#ASMSTART
	v_dot2_f32_f16 v27, v29, v35, v27
	;;#ASMEND
	;;#ASMSTART
	v_dot2_f32_f16 v27, v30, v36, v27
	;;#ASMEND
	;;#ASMSTART
	v_dot2_f32_f16 v27, v31, v37, v27
	;;#ASMEND
	s_waitcnt lgkmcnt(0)
	;;#ASMSTART
	v_dot2_f32_f16 v33, v28, v38, v33
	;;#ASMEND
	;;#ASMSTART
	v_dot2_f32_f16 v33, v29, v39, v33
	;;#ASMEND
	;;#ASMSTART
	v_dot2_f32_f16 v33, v30, v40, v33
	;;#ASMEND
	;;#ASMSTART
	v_dot2_f32_f16 v33, v31, v41, v33
	;;#ASMEND
	ds_read_b128 v[28:31], v16 offset:112
	ds_read_b128 v[34:37], v7 offset:368
	ds_read_b128 v[38:41], v7 offset:752
	s_waitcnt lgkmcnt(1)
	;;#ASMSTART
	v_dot2_f32_f16 v27, v28, v34, v27
	;;#ASMEND
	;;#ASMSTART
	v_dot2_f32_f16 v27, v29, v35, v27
	;;#ASMEND
	;; [unrolled: 3-line block ×4, first 2 shown]
	s_waitcnt lgkmcnt(0)
	;;#ASMSTART
	v_dot2_f32_f16 v33, v28, v38, v33
	;;#ASMEND
	;;#ASMSTART
	v_dot2_f32_f16 v33, v29, v39, v33
	;;#ASMEND
	;; [unrolled: 3-line block ×4, first 2 shown]
	global_load_ushort v4, v[4:5], off
	v_cmp_ngt_f32_e64 s6, 0x3f200000, |v27|
                                        ; implicit-def: $vgpr5
	s_and_saveexec_b32 s7, s6
	s_xor_b32 s6, exec_lo, s7
	s_cbranch_execz .LBB22_15
; %bb.14:                               ;   in Loop: Header=BB22_13 Depth=1
	v_add_f32_e64 v5, |v27|, |v27|
	v_mul_f32_e32 v28, 0x3fb8aa3b, v5
	v_cmp_ngt_f32_e32 vcc_lo, 0xc2ce8ed0, v5
	v_rndne_f32_e32 v29, v28
	v_fma_f32 v30, 0x3fb8aa3b, v5, -v28
	v_sub_f32_e32 v28, v28, v29
	v_fmac_f32_e32 v30, 0x32a5705f, v5
	v_cvt_i32_f32_e32 v29, v29
	v_add_f32_e32 v28, v28, v30
	v_exp_f32_e32 v28, v28
	v_ldexp_f32 v28, v28, v29
	v_cndmask_b32_e32 v28, 0, v28, vcc_lo
	v_cmp_nlt_f32_e32 vcc_lo, 0x42b17218, v5
	v_cndmask_b32_e32 v5, 0x7f800000, v28, vcc_lo
	v_add_f32_e32 v5, 1.0, v5
	v_rcp_f32_e32 v5, v5
	v_fma_f32 v5, v5, -2.0, 1.0
.LBB22_15:                              ;   in Loop: Header=BB22_13 Depth=1
	s_andn2_saveexec_b32 s6, s6
	s_cbranch_execz .LBB22_17
; %bb.16:                               ;   in Loop: Header=BB22_13 Depth=1
	v_mul_f32_e32 v5, v27, v27
	v_fmaak_f32 v28, s11, v5, 0x3ca908c9
	v_fmaak_f32 v28, v5, v28, 0xbd5c1c4e
	;; [unrolled: 1-line block ×4, first 2 shown]
	v_mul_f32_e64 v28, |v27|, v28
	v_fma_f32 v5, v5, v28, |v27|
.LBB22_17:                              ;   in Loop: Header=BB22_13 Depth=1
	s_or_b32 exec_lo, exec_lo, s6
	v_bfi_b32 v5, 0x7fffffff, v5, v27
	v_xor_b32_e32 v31, 16, v8
	v_max_f32_e32 v29, v32, v32
	v_cmp_ngt_f32_e64 s6, 0x3f200000, |v33|
	s_waitcnt vmcnt(0)
	v_fma_mix_f32 v5, s10, v5, v4 op_sel_hi:[0,0,1]
	v_cmp_gt_i32_e32 vcc_lo, 32, v31
	v_add_f32_e32 v28, 0x40051340, v5
	v_cndmask_b32_e32 v27, v8, v31, vcc_lo
	v_max_f32_e32 v28, v29, v28
	v_lshlrev_b32_e32 v34, 2, v27
	v_xor_b32_e32 v27, 8, v8
	ds_bpermute_b32 v29, v34, v28
	v_cmp_gt_i32_e32 vcc_lo, 32, v27
	v_cndmask_b32_e32 v30, v8, v27, vcc_lo
	v_lshlrev_b32_e32 v35, 2, v30
	s_waitcnt lgkmcnt(0)
	v_max_f32_e32 v29, v29, v29
	v_max_f32_e32 v29, v28, v29
	v_xor_b32_e32 v28, 4, v8
	ds_bpermute_b32 v30, v35, v29
	v_cmp_gt_i32_e32 vcc_lo, 32, v28
	v_cndmask_b32_e32 v36, v8, v28, vcc_lo
	v_lshlrev_b32_e32 v36, 2, v36
	s_waitcnt lgkmcnt(0)
	v_max_f32_e32 v30, v30, v30
	v_max_f32_e32 v30, v29, v30
	v_xor_b32_e32 v29, 2, v8
	ds_bpermute_b32 v37, v36, v30
	v_cmp_gt_i32_e32 vcc_lo, 32, v29
	v_cndmask_b32_e32 v38, v8, v29, vcc_lo
	s_waitcnt lgkmcnt(0)
	v_max_f32_e32 v39, v37, v37
	v_lshlrev_b32_e32 v37, 2, v38
	v_max_f32_e32 v38, v30, v39
	v_xor_b32_e32 v30, 1, v8
	ds_bpermute_b32 v39, v37, v38
	v_cmp_gt_i32_e32 vcc_lo, 32, v30
	v_cndmask_b32_e32 v40, v8, v30, vcc_lo
	s_waitcnt lgkmcnt(0)
	v_max_f32_e32 v41, v39, v39
	v_lshlrev_b32_e32 v39, 2, v40
	v_max_f32_e32 v38, v38, v41
                                        ; implicit-def: $vgpr41
	ds_bpermute_b32 v40, v39, v38
	s_and_saveexec_b32 s7, s6
	s_xor_b32 s6, exec_lo, s7
	s_cbranch_execz .LBB22_19
; %bb.18:                               ;   in Loop: Header=BB22_13 Depth=1
	v_add_f32_e64 v41, |v33|, |v33|
	v_mul_f32_e32 v42, 0x3fb8aa3b, v41
	v_cmp_ngt_f32_e32 vcc_lo, 0xc2ce8ed0, v41
	v_rndne_f32_e32 v43, v42
	v_fma_f32 v44, 0x3fb8aa3b, v41, -v42
	v_sub_f32_e32 v42, v42, v43
	v_fmac_f32_e32 v44, 0x32a5705f, v41
	v_cvt_i32_f32_e32 v43, v43
	v_add_f32_e32 v42, v42, v44
	v_exp_f32_e32 v42, v42
	v_ldexp_f32 v42, v42, v43
	v_cndmask_b32_e32 v42, 0, v42, vcc_lo
	v_cmp_nlt_f32_e32 vcc_lo, 0x42b17218, v41
	v_cndmask_b32_e32 v41, 0x7f800000, v42, vcc_lo
	v_add_f32_e32 v41, 1.0, v41
	v_rcp_f32_e32 v41, v41
	v_fma_f32 v41, v41, -2.0, 1.0
.LBB22_19:                              ;   in Loop: Header=BB22_13 Depth=1
	s_andn2_saveexec_b32 s6, s6
	s_cbranch_execz .LBB22_21
; %bb.20:                               ;   in Loop: Header=BB22_13 Depth=1
	v_mul_f32_e32 v41, v33, v33
	v_fmaak_f32 v42, s11, v41, 0x3ca908c9
	v_fmaak_f32 v42, v41, v42, 0xbd5c1c4e
	;; [unrolled: 1-line block ×4, first 2 shown]
	v_mul_f32_e64 v42, |v33|, v42
	v_fma_f32 v41, v41, v42, |v33|
.LBB22_21:                              ;   in Loop: Header=BB22_13 Depth=1
	s_or_b32 exec_lo, exec_lo, s6
	s_mul_hi_i32 s7, s8, s9
	s_mul_i32 s6, s8, s9
	s_waitcnt lgkmcnt(0)
	s_lshl_b64 s[6:7], s[6:7], 2
	s_barrier
	v_add_co_u32 v42, vcc_lo, v19, s6
	v_add_co_ci_u32_e64 v43, null, s7, v20, vcc_lo
	buffer_gl0_inv
	v_cvt_f32_f16_e32 v46, v4
	v_bfi_b32 v4, 0x7fffffff, v41, v33
	global_load_dwordx4 v[42:45], v[42:43], off
	s_or_b32 s6, s8, 16
	s_mul_hi_i32 s7, s6, s9
	v_fmac_f32_e32 v46, s10, v4
	v_max_f32_e32 v4, v26, v26
	s_mul_i32 s6, s6, s9
	s_lshl_b64 s[6:7], s[6:7], 2
	v_add_f32_e32 v33, 0x40051340, v46
	v_max_f32_e32 v4, v4, v33
	ds_bpermute_b32 v33, v34, v4
	s_waitcnt lgkmcnt(0)
	v_max_f32_e32 v33, v33, v33
	v_max_f32_e32 v4, v4, v33
	ds_bpermute_b32 v33, v35, v4
	v_max_f32_e32 v35, v38, v38
	s_waitcnt lgkmcnt(0)
	v_max_f32_e32 v33, v33, v33
	v_max_f32_e32 v4, v4, v33
	ds_bpermute_b32 v33, v36, v4
	s_waitcnt lgkmcnt(0)
	v_max_f32_e32 v33, v33, v33
	v_max_f32_e32 v4, v4, v33
	ds_bpermute_b32 v33, v37, v4
	v_add_nc_u32_e32 v37, v1, v11
	s_waitcnt lgkmcnt(0)
	v_max_f32_e32 v33, v33, v33
	v_max_f32_e32 v33, v4, v33
	;; [unrolled: 1-line block ×3, first 2 shown]
	ds_bpermute_b32 v34, v39, v33
	v_max_f32_e32 v4, v35, v4
	v_sub_f32_e32 v35, v5, v4
	v_sub_f32_e32 v36, v32, v4
	v_add_nc_u32_e32 v32, 0x1800, v6
	v_cmp_ngt_f32_e32 vcc_lo, 0xc2ce8ed0, v35
	s_waitcnt lgkmcnt(0)
	v_max_f32_e32 v34, v34, v34
	v_max_f32_e32 v5, v33, v34
	v_mul_f32_e32 v33, 0x3fb8aa3b, v35
	v_mul_f32_e32 v34, 0x3fb8aa3b, v36
	v_sub_f32_e32 v38, v46, v5
	v_fma_f32 v39, 0x3fb8aa3b, v35, -v33
	v_rndne_f32_e32 v40, v33
	v_fma_f32 v41, 0x3fb8aa3b, v36, -v34
	v_rndne_f32_e32 v46, v34
	v_mul_f32_e32 v47, 0x3fb8aa3b, v38
	v_fmac_f32_e32 v39, 0x32a5705f, v35
	v_sub_f32_e32 v33, v33, v40
	v_fmac_f32_e32 v41, 0x32a5705f, v36
	v_sub_f32_e32 v34, v34, v46
	v_fma_f32 v48, 0x3fb8aa3b, v38, -v47
	v_rndne_f32_e32 v49, v47
	v_add_f32_e32 v33, v33, v39
	v_sub_f32_e32 v50, v26, v5
	v_add_f32_e32 v34, v34, v41
	v_fmac_f32_e32 v48, 0x32a5705f, v38
	v_sub_f32_e32 v39, v47, v49
	v_exp_f32_e32 v33, v33
	v_cvt_i32_f32_e32 v40, v40
	v_exp_f32_e32 v34, v34
	v_mul_f32_e32 v41, 0x3fb8aa3b, v50
	v_add_f32_e32 v39, v39, v48
	v_cvt_i32_f32_e32 v46, v46
	v_add_nc_u32_e32 v26, 0x2000, v6
	v_fma_f32 v47, 0x3fb8aa3b, v50, -v41
	v_exp_f32_e32 v39, v39
	v_ldexp_f32 v33, v33, v40
	v_rndne_f32_e32 v48, v41
	v_cvt_i32_f32_e32 v40, v49
	v_ldexp_f32 v34, v34, v46
	v_fmac_f32_e32 v47, 0x32a5705f, v50
	v_cndmask_b32_e32 v33, 0, v33, vcc_lo
	v_cmp_ngt_f32_e32 vcc_lo, 0xc2ce8ed0, v36
	v_sub_f32_e32 v41, v41, v48
	v_ldexp_f32 v39, v39, v40
	v_cndmask_b32_e32 v40, 0, v34, vcc_lo
	v_cmp_ngt_f32_e32 vcc_lo, 0xc2ce8ed0, v38
	v_add_f32_e32 v41, v41, v47
	v_cndmask_b32_e32 v39, 0, v39, vcc_lo
	v_cmp_nlt_f32_e32 vcc_lo, 0x42b17218, v35
	v_exp_f32_e32 v41, v41
	v_cvt_i32_f32_e32 v35, v48
	v_cndmask_b32_e32 v34, 0x7f800000, v33, vcc_lo
	v_cmp_nlt_f32_e32 vcc_lo, 0x42b17218, v38
	v_cndmask_b32_e32 v33, 0x7f800000, v39, vcc_lo
	v_cmp_nlt_f32_e32 vcc_lo, 0x42b17218, v36
	v_ldexp_f32 v35, v41, v35
	v_cvt_f16_f32_e32 v36, v34
	v_cvt_f16_f32_e32 v38, v33
	v_cndmask_b32_e32 v39, 0x7f800000, v40, vcc_lo
	v_cmp_ngt_f32_e32 vcc_lo, 0xc2ce8ed0, v50
	v_pack_b32_f16 v36, v36, v38
	v_cvt_f16_f32_e32 v40, v39
	v_cndmask_b32_e32 v35, 0, v35, vcc_lo
	v_cmp_nlt_f32_e32 vcc_lo, 0x42b17218, v50
	v_fmac_f32_e32 v34, v25, v39
	ds_write_b32 v37, v36
	s_waitcnt vmcnt(0)
	ds_write_b128 v18, v[42:45]
	v_cndmask_b32_e32 v46, 0x7f800000, v35, vcc_lo
	v_mul_u32_u24_sdwa v77, v40, v21 dst_sel:DWORD dst_unused:UNUSED_PAD src0_sel:WORD_0 src1_sel:DWORD
	s_waitcnt lgkmcnt(0)
	s_barrier
	buffer_gl0_inv
	ds_read_b128 v[35:38], v1
	v_cvt_f16_f32_e32 v40, v46
	v_fmac_f32_e32 v33, v24, v46
	v_add_co_u32 v75, vcc_lo, v19, s6
	v_add_co_ci_u32_e64 v76, null, s7, v20, vcc_lo
	v_mul_u32_u24_sdwa v78, v40, v21 dst_sel:DWORD dst_unused:UNUSED_PAD src0_sel:WORD_0 src1_sel:DWORD
	ds_read_b128 v[39:42], v1 offset:16
	ds_read2_b64 v[43:46], v32 offset1:32
	ds_read2_b64 v[47:50], v32 offset0:64 offset1:96
	ds_read2_b64 v[51:54], v32 offset0:128 offset1:160
	;; [unrolled: 1-line block ×3, first 2 shown]
	ds_read_b128 v[59:62], v1 offset:32
	ds_read_b128 v[63:66], v1 offset:48
	ds_read2_b64 v[67:70], v26 offset1:32
	ds_read2_b64 v[71:74], v26 offset0:64 offset1:96
	v_pk_mul_f16 v23, v23, v77
	v_pk_mul_f16 v17, v17, v78
	s_waitcnt lgkmcnt(9)
	v_mul_u32_u24_sdwa v24, v35, v21 dst_sel:DWORD dst_unused:UNUSED_PAD src0_sel:WORD_0 src1_sel:DWORD
	v_mul_u32_u24_sdwa v79, v35, v21 dst_sel:DWORD dst_unused:UNUSED_PAD src0_sel:WORD_1 src1_sel:DWORD
	v_mul_u32_u24_sdwa v80, v36, v21 dst_sel:DWORD dst_unused:UNUSED_PAD src0_sel:WORD_0 src1_sel:DWORD
	v_mul_u32_u24_sdwa v81, v36, v21 dst_sel:DWORD dst_unused:UNUSED_PAD src0_sel:WORD_1 src1_sel:DWORD
	v_mul_u32_u24_sdwa v82, v37, v21 dst_sel:DWORD dst_unused:UNUSED_PAD src0_sel:WORD_0 src1_sel:DWORD
	s_waitcnt lgkmcnt(7)
	v_pk_mul_f16 v25, v43, v24
	v_mul_u32_u24_sdwa v83, v37, v21 dst_sel:DWORD dst_unused:UNUSED_PAD src0_sel:WORD_1 src1_sel:DWORD
	v_mul_u32_u24_sdwa v84, v38, v21 dst_sel:DWORD dst_unused:UNUSED_PAD src0_sel:WORD_0 src1_sel:DWORD
	v_mul_u32_u24_sdwa v86, v39, v21 dst_sel:DWORD dst_unused:UNUSED_PAD src0_sel:WORD_0 src1_sel:DWORD
	v_mul_u32_u24_sdwa v87, v39, v21 dst_sel:DWORD dst_unused:UNUSED_PAD src0_sel:WORD_1 src1_sel:DWORD
	v_pk_mul_f16 v39, v43, v79
	v_mul_u32_u24_sdwa v85, v38, v21 dst_sel:DWORD dst_unused:UNUSED_PAD src0_sel:WORD_1 src1_sel:DWORD
	v_mul_u32_u24_sdwa v88, v40, v21 dst_sel:DWORD dst_unused:UNUSED_PAD src0_sel:WORD_0 src1_sel:DWORD
	v_mul_u32_u24_sdwa v89, v40, v21 dst_sel:DWORD dst_unused:UNUSED_PAD src0_sel:WORD_1 src1_sel:DWORD
	v_mul_u32_u24_sdwa v90, v41, v21 dst_sel:DWORD dst_unused:UNUSED_PAD src0_sel:WORD_0 src1_sel:DWORD
	;; [unrolled: 2-line block ×3, first 2 shown]
	v_mul_u32_u24_sdwa v93, v42, v21 dst_sel:DWORD dst_unused:UNUSED_PAD src0_sel:WORD_1 src1_sel:DWORD
	ds_read2_b64 v[35:38], v26 offset0:128 offset1:160
	v_pk_fma_f16 v43, v44, v24, v23
	v_pk_fma_f16 v77, v22, v77, v25
	ds_read2_b64 v[22:25], v26 offset0:192 offset1:224
	s_waitcnt lgkmcnt(0)
	s_barrier
	buffer_gl0_inv
	v_pk_fma_f16 v12, v12, v78, v39
	global_load_dwordx4 v[39:42], v[75:76], off
	v_pk_fma_f16 v17, v44, v79, v17
	v_pk_fma_f16 v43, v46, v80, v43
	;; [unrolled: 1-line block ×4, first 2 shown]
	v_mul_u32_u24_sdwa v44, v59, v21 dst_sel:DWORD dst_unused:UNUSED_PAD src0_sel:WORD_0 src1_sel:DWORD
	v_pk_fma_f16 v17, v46, v81, v17
	v_pk_fma_f16 v43, v48, v82, v43
	v_mul_u32_u24_sdwa v59, v59, v21 dst_sel:DWORD dst_unused:UNUSED_PAD src0_sel:WORD_1 src1_sel:DWORD
	v_pk_fma_f16 v12, v47, v83, v12
	v_mul_u32_u24_sdwa v45, v60, v21 dst_sel:DWORD dst_unused:UNUSED_PAD src0_sel:WORD_0 src1_sel:DWORD
	v_pk_fma_f16 v17, v48, v83, v17
	v_pk_fma_f16 v48, v47, v82, v75
	v_pk_fma_f16 v43, v50, v84, v43
	v_pk_fma_f16 v12, v49, v85, v12
	v_mul_u32_u24_sdwa v46, v60, v21 dst_sel:DWORD dst_unused:UNUSED_PAD src0_sel:WORD_1 src1_sel:DWORD
	v_pk_fma_f16 v17, v50, v85, v17
	v_pk_fma_f16 v48, v49, v84, v48
	v_pk_fma_f16 v43, v52, v86, v43
	v_pk_fma_f16 v12, v51, v87, v12
	v_mul_u32_u24_sdwa v47, v61, v21 dst_sel:DWORD dst_unused:UNUSED_PAD src0_sel:WORD_0 src1_sel:DWORD
	v_pk_fma_f16 v17, v52, v87, v17
	v_pk_fma_f16 v48, v51, v86, v48
	v_pk_fma_f16 v43, v54, v88, v43
	v_pk_fma_f16 v12, v53, v89, v12
	v_mul_u32_u24_sdwa v49, v61, v21 dst_sel:DWORD dst_unused:UNUSED_PAD src0_sel:WORD_1 src1_sel:DWORD
	v_pk_fma_f16 v17, v54, v89, v17
	v_pk_fma_f16 v48, v53, v88, v48
	v_pk_fma_f16 v43, v56, v90, v43
	;; [unrolled: 10-line block ×4, first 2 shown]
	v_pk_fma_f16 v12, v71, v49, v12
	v_mul_u32_u24_sdwa v48, v64, v21 dst_sel:DWORD dst_unused:UNUSED_PAD src0_sel:WORD_0 src1_sel:DWORD
	v_pk_fma_f16 v17, v72, v49, v17
	v_pk_fma_f16 v44, v71, v47, v44
	;; [unrolled: 1-line block ×3, first 2 shown]
	v_mul_u32_u24_sdwa v45, v64, v21 dst_sel:DWORD dst_unused:UNUSED_PAD src0_sel:WORD_1 src1_sel:DWORD
	v_pk_fma_f16 v12, v73, v51, v12
	v_pk_fma_f16 v17, v74, v51, v17
	;; [unrolled: 1-line block ×4, first 2 shown]
	v_mul_u32_u24_sdwa v46, v65, v21 dst_sel:DWORD dst_unused:UNUSED_PAD src0_sel:WORD_0 src1_sel:DWORD
	v_mul_u32_u24_sdwa v47, v65, v21 dst_sel:DWORD dst_unused:UNUSED_PAD src0_sel:WORD_1 src1_sel:DWORD
	v_pk_fma_f16 v17, v36, v53, v17
	v_pk_fma_f16 v36, v35, v52, v44
	;; [unrolled: 1-line block ×4, first 2 shown]
	v_mul_u32_u24_sdwa v44, v66, v21 dst_sel:DWORD dst_unused:UNUSED_PAD src0_sel:WORD_0 src1_sel:DWORD
	v_pk_fma_f16 v17, v38, v45, v17
	v_pk_fma_f16 v36, v37, v48, v36
	;; [unrolled: 1-line block ×4, first 2 shown]
	v_mul_u32_u24_sdwa v43, v66, v21 dst_sel:DWORD dst_unused:UNUSED_PAD src0_sel:WORD_1 src1_sel:DWORD
	v_pk_fma_f16 v17, v23, v47, v17
	v_pk_fma_f16 v23, v22, v46, v36
	;; [unrolled: 1-line block ×7, first 2 shown]
	s_waitcnt vmcnt(0)
	ds_write_b128 v18, v[39:42]
	s_waitcnt lgkmcnt(0)
	s_barrier
	buffer_gl0_inv
	ds_read_b128 v[35:38], v1 offset:64
	ds_read_b128 v[22:25], v1 offset:80
	ds_read2_b64 v[39:42], v32 offset1:32
	ds_read_b128 v[43:46], v1 offset:96
	ds_read_b128 v[47:50], v1 offset:112
	ds_read2_b64 v[51:54], v32 offset0:64 offset1:96
	ds_read2_b64 v[55:58], v32 offset0:128 offset1:160
	;; [unrolled: 1-line block ×3, first 2 shown]
	ds_read2_b64 v[63:66], v26 offset1:32
	ds_read2_b64 v[67:70], v26 offset0:64 offset1:96
	ds_read2_b64 v[71:74], v26 offset0:128 offset1:160
	;; [unrolled: 1-line block ×3, first 2 shown]
	s_waitcnt lgkmcnt(0)
	s_barrier
	buffer_gl0_inv
	s_load_dword s6, s[0:1], 0x4
	v_mul_u32_u24_sdwa v83, v22, v21 dst_sel:DWORD dst_unused:UNUSED_PAD src0_sel:WORD_0 src1_sel:DWORD
	v_mul_u32_u24_sdwa v22, v22, v21 dst_sel:DWORD dst_unused:UNUSED_PAD src0_sel:WORD_1 src1_sel:DWORD
	v_mul_u32_u24_sdwa v84, v23, v21 dst_sel:DWORD dst_unused:UNUSED_PAD src0_sel:WORD_0 src1_sel:DWORD
	v_mul_u32_u24_sdwa v23, v23, v21 dst_sel:DWORD dst_unused:UNUSED_PAD src0_sel:WORD_1 src1_sel:DWORD
	v_mul_u32_u24_sdwa v85, v24, v21 dst_sel:DWORD dst_unused:UNUSED_PAD src0_sel:WORD_0 src1_sel:DWORD
	v_mul_u32_u24_sdwa v24, v24, v21 dst_sel:DWORD dst_unused:UNUSED_PAD src0_sel:WORD_1 src1_sel:DWORD
	v_mul_u32_u24_sdwa v86, v25, v21 dst_sel:DWORD dst_unused:UNUSED_PAD src0_sel:WORD_0 src1_sel:DWORD
	v_mul_u32_u24_sdwa v25, v25, v21 dst_sel:DWORD dst_unused:UNUSED_PAD src0_sel:WORD_1 src1_sel:DWORD
	v_mul_u32_u24_sdwa v87, v43, v21 dst_sel:DWORD dst_unused:UNUSED_PAD src0_sel:WORD_0 src1_sel:DWORD
	v_mul_u32_u24_sdwa v26, v35, v21 dst_sel:DWORD dst_unused:UNUSED_PAD src0_sel:WORD_0 src1_sel:DWORD
	v_mul_u32_u24_sdwa v32, v35, v21 dst_sel:DWORD dst_unused:UNUSED_PAD src0_sel:WORD_1 src1_sel:DWORD
	v_mul_u32_u24_sdwa v35, v36, v21 dst_sel:DWORD dst_unused:UNUSED_PAD src0_sel:WORD_0 src1_sel:DWORD
	v_mul_u32_u24_sdwa v36, v36, v21 dst_sel:DWORD dst_unused:UNUSED_PAD src0_sel:WORD_1 src1_sel:DWORD
	v_mul_u32_u24_sdwa v81, v37, v21 dst_sel:DWORD dst_unused:UNUSED_PAD src0_sel:WORD_0 src1_sel:DWORD
	v_pk_fma_f16 v80, v39, v26, v80
	v_pk_fma_f16 v12, v39, v32, v12
	;; [unrolled: 1-line block ×4, first 2 shown]
	v_mul_u32_u24_sdwa v37, v37, v21 dst_sel:DWORD dst_unused:UNUSED_PAD src0_sel:WORD_1 src1_sel:DWORD
	v_pk_fma_f16 v39, v41, v35, v80
	v_pk_fma_f16 v12, v41, v36, v12
	;; [unrolled: 1-line block ×4, first 2 shown]
	v_mul_u32_u24_sdwa v82, v38, v21 dst_sel:DWORD dst_unused:UNUSED_PAD src0_sel:WORD_0 src1_sel:DWORD
	v_mul_u32_u24_sdwa v38, v38, v21 dst_sel:DWORD dst_unused:UNUSED_PAD src0_sel:WORD_1 src1_sel:DWORD
	v_pk_fma_f16 v36, v51, v81, v39
	v_pk_fma_f16 v12, v51, v37, v12
	v_pk_fma_f16 v26, v52, v81, v26
	v_pk_fma_f16 v17, v52, v37, v17
	v_mul_u32_u24_sdwa v43, v43, v21 dst_sel:DWORD dst_unused:UNUSED_PAD src0_sel:WORD_1 src1_sel:DWORD
	v_pk_fma_f16 v36, v53, v82, v36
	v_pk_fma_f16 v12, v53, v38, v12
	v_pk_fma_f16 v26, v54, v82, v26
	v_pk_fma_f16 v17, v54, v38, v17
	v_mul_u32_u24_sdwa v32, v44, v21 dst_sel:DWORD dst_unused:UNUSED_PAD src0_sel:WORD_0 src1_sel:DWORD
	v_pk_fma_f16 v36, v55, v83, v36
	v_pk_fma_f16 v12, v55, v22, v12
	v_pk_fma_f16 v26, v56, v83, v26
	v_pk_fma_f16 v17, v56, v22, v17
	v_mul_u32_u24_sdwa v35, v44, v21 dst_sel:DWORD dst_unused:UNUSED_PAD src0_sel:WORD_1 src1_sel:DWORD
	v_pk_fma_f16 v36, v57, v84, v36
	v_pk_fma_f16 v12, v57, v23, v12
	v_pk_fma_f16 v26, v58, v84, v26
	v_pk_fma_f16 v17, v58, v23, v17
	v_mul_u32_u24_sdwa v37, v45, v21 dst_sel:DWORD dst_unused:UNUSED_PAD src0_sel:WORD_0 src1_sel:DWORD
	;; [unrolled: 10-line block ×5, first 2 shown]
	v_mul_u32_u24_sdwa v32, v48, v21 dst_sel:DWORD dst_unused:UNUSED_PAD src0_sel:WORD_1 src1_sel:DWORD
	v_pk_fma_f16 v26, v71, v24, v35
	v_pk_fma_f16 v12, v71, v25, v12
	;; [unrolled: 1-line block ×4, first 2 shown]
	v_mul_u32_u24_sdwa v36, v49, v21 dst_sel:DWORD dst_unused:UNUSED_PAD src0_sel:WORD_0 src1_sel:DWORD
	v_mul_u32_u24_sdwa v23, v49, v21 dst_sel:DWORD dst_unused:UNUSED_PAD src0_sel:WORD_1 src1_sel:DWORD
	v_pk_fma_f16 v25, v73, v39, v26
	v_pk_fma_f16 v12, v73, v32, v12
	v_pk_fma_f16 v22, v74, v39, v22
	v_pk_fma_f16 v17, v74, v32, v17
	v_mul_u32_u24_sdwa v24, v50, v21 dst_sel:DWORD dst_unused:UNUSED_PAD src0_sel:WORD_0 src1_sel:DWORD
	v_mul_u32_u24_sdwa v26, v50, v21 dst_sel:DWORD dst_unused:UNUSED_PAD src0_sel:WORD_1 src1_sel:DWORD
	v_pk_fma_f16 v25, v75, v36, v25
	v_pk_fma_f16 v12, v75, v23, v12
	;; [unrolled: 1-line block ×4, first 2 shown]
	s_waitcnt lgkmcnt(0)
	s_lshl_b32 s6, s6, 5
	v_pk_fma_f16 v22, v77, v24, v25
	v_pk_fma_f16 v12, v77, v26, v12
	;; [unrolled: 1-line block ×4, first 2 shown]
	s_add_i32 s8, s6, s8
	s_cmp_ge_i32 s8, s30
	s_cbranch_scc1 .LBB22_23
; %bb.22:                               ;   in Loop: Header=BB22_13 Depth=1
	v_mov_b32_e32 v32, v4
	v_mov_b32_e32 v26, v5
	;; [unrolled: 1-line block ×4, first 2 shown]
	s_branch .LBB22_13
.LBB22_23:
	v_mov_b32_e32 v3, v8
.LBB22_24:
	v_cmp_lt_i32_e32 vcc_lo, v31, v9
	s_cmp_lg_u64 s[16:17], 0
	s_cselect_b32 s0, -1, 0
	s_cmp_eq_u32 s28, 0
	v_cndmask_b32_e32 v1, v3, v31, vcc_lo
	v_cmp_lt_i32_e32 vcc_lo, v27, v9
	s_cselect_b32 s1, -1, 0
	s_and_b32 s0, s1, s0
	v_lshlrev_b32_e32 v1, 2, v1
	v_cndmask_b32_e32 v7, v3, v27, vcc_lo
	v_cmp_lt_i32_e32 vcc_lo, v28, v9
	ds_bpermute_b32 v6, v1, v34
	ds_bpermute_b32 v1, v1, v33
	v_lshlrev_b32_e32 v7, 2, v7
	v_cndmask_b32_e32 v13, v3, v28, vcc_lo
	v_cmp_lt_i32_e32 vcc_lo, v29, v9
	v_lshlrev_b32_e32 v13, 2, v13
	s_waitcnt lgkmcnt(1)
	v_add_f32_e32 v6, v34, v6
	s_waitcnt lgkmcnt(0)
	v_add_f32_e32 v1, v33, v1
	ds_bpermute_b32 v8, v7, v6
	ds_bpermute_b32 v7, v7, v1
	s_waitcnt lgkmcnt(1)
	v_add_f32_e32 v6, v6, v8
	s_waitcnt lgkmcnt(0)
	v_add_f32_e32 v1, v1, v7
	ds_bpermute_b32 v7, v13, v6
	ds_bpermute_b32 v8, v13, v1
	v_cndmask_b32_e32 v13, v3, v29, vcc_lo
	v_cmp_lt_i32_e32 vcc_lo, v30, v9
	v_lshlrev_b32_e32 v13, 2, v13
	v_cndmask_b32_e32 v3, v3, v30, vcc_lo
	s_and_b32 vcc_lo, exec_lo, s0
	v_lshlrev_b32_e32 v3, 2, v3
	s_waitcnt lgkmcnt(1)
	v_add_f32_e32 v6, v6, v7
	s_waitcnt lgkmcnt(0)
	v_add_f32_e32 v1, v1, v8
	ds_bpermute_b32 v7, v13, v6
	ds_bpermute_b32 v8, v13, v1
	s_waitcnt lgkmcnt(1)
	v_add_f32_e32 v6, v6, v7
	s_waitcnt lgkmcnt(0)
	v_add_f32_e32 v1, v1, v8
	ds_bpermute_b32 v7, v3, v6
	ds_bpermute_b32 v3, v3, v1
	s_waitcnt lgkmcnt(1)
	v_add_f32_e32 v6, v6, v7
	s_waitcnt lgkmcnt(0)
	v_add_f32_e32 v7, v1, v3
	s_cbranch_vccz .LBB22_27
; %bb.25:
	v_add_nc_u32_e32 v8, s33, v10
	v_max_f32_e32 v1, v4, v4
	v_max_f32_e32 v14, v5, v5
	v_ashrrev_i32_e32 v9, 31, v8
	v_lshlrev_b64 v[8:9], 2, v[8:9]
	v_add_co_u32 v8, vcc_lo, s16, v8
	v_add_co_ci_u32_e64 v9, null, s17, v9, vcc_lo
	global_load_dwordx2 v[8:9], v[8:9], off
	s_waitcnt vmcnt(0)
	v_max_f32_e32 v3, v8, v8
	v_max_f32_e32 v15, v9, v9
	;; [unrolled: 1-line block ×4, first 2 shown]
	v_sub_f32_e32 v1, v4, v13
	v_sub_f32_e32 v3, v8, v13
	;; [unrolled: 1-line block ×4, first 2 shown]
	v_mul_f32_e32 v8, 0x3fb8aa3b, v1
	v_mul_f32_e32 v9, 0x3fb8aa3b, v3
	;; [unrolled: 1-line block ×4, first 2 shown]
	v_cmp_ngt_f32_e32 vcc_lo, 0xc2ce8ed0, v1
	v_fma_f32 v18, 0x3fb8aa3b, v1, -v8
	v_rndne_f32_e32 v19, v8
	v_fma_f32 v24, 0x3fb8aa3b, v4, -v15
	v_rndne_f32_e32 v25, v15
	v_fma_f32 v20, 0x3fb8aa3b, v3, -v9
	v_fmac_f32_e32 v18, 0x32a5705f, v1
	v_sub_f32_e32 v8, v8, v19
	v_rndne_f32_e32 v21, v9
	v_fmac_f32_e32 v24, 0x32a5705f, v4
	v_sub_f32_e32 v15, v15, v25
	v_fmac_f32_e32 v20, 0x32a5705f, v3
	v_add_f32_e32 v8, v8, v18
	v_sub_f32_e32 v9, v9, v21
	v_cvt_i32_f32_e32 v18, v19
	v_add_f32_e32 v15, v15, v24
	v_fma_f32 v26, 0x3fb8aa3b, v5, -v16
	v_exp_f32_e32 v8, v8
	v_add_f32_e32 v9, v9, v20
	v_rndne_f32_e32 v27, v16
	v_exp_f32_e32 v15, v15
	v_cvt_i32_f32_e32 v20, v25
	v_fmac_f32_e32 v26, 0x32a5705f, v5
	v_exp_f32_e32 v9, v9
	v_sub_f32_e32 v16, v16, v27
	v_cvt_i32_f32_e32 v19, v21
	v_cvt_i32_f32_e32 v21, v27
	v_ldexp_f32 v8, v8, v18
	v_mov_b32_e32 v24, 0x10001
	v_add_f32_e32 v16, v16, v26
	v_ldexp_f32 v15, v15, v20
	v_cndmask_b32_e32 v8, 0, v8, vcc_lo
	v_cmp_ngt_f32_e32 vcc_lo, 0xc2ce8ed0, v4
	v_ldexp_f32 v9, v9, v19
	v_exp_f32_e32 v16, v16
	v_cndmask_b32_e32 v15, 0, v15, vcc_lo
	v_cmp_ngt_f32_e32 vcc_lo, 0xc2ce8ed0, v3
	v_cndmask_b32_e32 v9, 0, v9, vcc_lo
	v_cmp_nlt_f32_e32 vcc_lo, 0x42b17218, v1
	v_ldexp_f32 v16, v16, v21
	v_cndmask_b32_e32 v1, 0x7f800000, v8, vcc_lo
	v_cmp_nlt_f32_e32 vcc_lo, 0x42b17218, v4
	v_cndmask_b32_e32 v15, 0x7f800000, v15, vcc_lo
	v_cmp_ngt_f32_e32 vcc_lo, 0xc2ce8ed0, v5
	v_cndmask_b32_e32 v4, 0, v16, vcc_lo
	v_cmp_nlt_f32_e32 vcc_lo, 0x42b17218, v3
	v_cvt_f16_f32_e32 v3, v1
	v_cvt_f16_f32_e32 v16, v15
	v_cndmask_b32_e32 v8, 0x7f800000, v9, vcc_lo
	v_cmp_nlt_f32_e32 vcc_lo, 0x42b17218, v5
	v_fmac_f32_e32 v8, v6, v1
	v_cndmask_b32_e32 v9, 0x7f800000, v4, vcc_lo
	v_mul_u32_u24_sdwa v1, v3, v24 dst_sel:DWORD dst_unused:UNUSED_PAD src0_sel:WORD_0 src1_sel:DWORD
	v_mul_u32_u24_sdwa v3, v16, v24 dst_sel:DWORD dst_unused:UNUSED_PAD src0_sel:WORD_0 src1_sel:DWORD
	v_mov_b32_e32 v4, v13
	v_mov_b32_e32 v5, v14
	v_fmac_f32_e32 v9, v7, v15
	v_mov_b32_e32 v6, v8
	v_pk_mul_f16 v22, v22, v1
	v_pk_mul_f16 v23, v23, v1
	;; [unrolled: 1-line block ×4, first 2 shown]
	v_mov_b32_e32 v7, v9
	s_mov_b32 s0, exec_lo
	v_cmpx_gt_i32_e64 s2, v2
	s_cbranch_execnz .LBB22_28
.LBB22_26:
	s_endpgm
.LBB22_27:
	v_mov_b32_e32 v9, v7
	v_mov_b32_e32 v8, v6
	s_mov_b32 s0, exec_lo
	v_cmpx_gt_i32_e64 s2, v2
	s_cbranch_execz .LBB22_26
.LBB22_28:
	s_load_dword s1, s[4:5], 0xd4
	v_mov_b32_e32 v3, 1.0
	s_waitcnt lgkmcnt(0)
	s_cmp_lg_u32 s1, 1
	s_cselect_b32 s5, -1, 0
	s_cmp_eq_u32 s1, 1
	s_cselect_b32 s4, -1, 0
	s_and_b32 vcc_lo, exec_lo, s5
	s_cbranch_vccnz .LBB22_30
; %bb.29:
	v_div_scale_f32 v1, null, v6, v6, 1.0
	v_rcp_f32_e32 v3, v1
	v_fma_f32 v13, -v1, v3, 1.0
	v_fmac_f32_e32 v3, v13, v3
	v_div_scale_f32 v13, vcc_lo, 1.0, v6, 1.0
	v_mul_f32_e32 v14, v13, v3
	v_fma_f32 v15, -v1, v14, v13
	v_fmac_f32_e32 v14, v15, v3
	v_fma_f32 v1, -v1, v14, v13
	v_div_fmas_f32 v1, v1, v3, v14
	v_div_fixup_f32 v3, v1, v6, 1.0
.LBB22_30:
	v_mad_u64_u32 v[1:2], null, s29, s2, v[2:3]
	v_mov_b32_e32 v14, 0
	v_cmp_eq_u32_e32 vcc_lo, 0, v0
	v_cvt_f32_f16_e32 v0, v22
	v_cvt_f32_f16_e32 v6, v23
	v_mul_lo_u32 v1, v1, s3
	v_mul_f32_e32 v15, v3, v6
	v_add3_u32 v1, s33, v10, v1
	v_cvt_f32_f16_sdwa v10, v23 dst_sel:DWORD dst_unused:UNUSED_PAD src0_sel:WORD_1
	v_mad_u64_u32 v[1:2], null, s1, v1, s[28:29]
	v_cvt_f32_f16_sdwa v2, v22 dst_sel:DWORD dst_unused:UNUSED_PAD src0_sel:WORD_1
	v_mul_f32_e32 v16, v3, v10
	v_lshl_add_u32 v13, v1, 7, v11
	v_lshlrev_b64 v[18:19], 2, v[13:14]
	v_mul_f32_e32 v14, v3, v2
	v_mul_f32_e32 v13, v3, v0
	v_add_co_u32 v2, s0, s20, v18
	v_add_co_ci_u32_e64 v3, null, s21, v19, s0
	s_and_b32 s0, vcc_lo, s5
	global_store_dwordx4 v[2:3], v[13:16], off
	s_and_saveexec_b32 s2, s0
	s_cbranch_execz .LBB22_32
; %bb.31:
	v_ashrrev_i32_e32 v2, 31, v1
	v_mov_b32_e32 v13, v4
	v_mov_b32_e32 v14, v8
	v_lshlrev_b64 v[2:3], 3, v[1:2]
	v_add_co_u32 v2, vcc_lo, s22, v2
	v_add_co_ci_u32_e64 v3, null, s23, v3, vcc_lo
	global_store_dwordx2 v[2:3], v[13:14], off
.LBB22_32:
	s_or_b32 exec_lo, exec_lo, s2
	v_mov_b32_e32 v2, 1.0
	s_andn2_b32 vcc_lo, exec_lo, s4
	s_cbranch_vccnz .LBB22_34
; %bb.33:
	v_div_scale_f32 v0, null, v7, v7, 1.0
	v_rcp_f32_e32 v2, v0
	v_fma_f32 v3, -v0, v2, 1.0
	v_fmac_f32_e32 v2, v3, v2
	v_div_scale_f32 v3, vcc_lo, 1.0, v7, 1.0
	v_mul_f32_e32 v4, v3, v2
	v_fma_f32 v6, -v0, v4, v3
	v_fmac_f32_e32 v4, v6, v2
	v_fma_f32 v0, -v0, v4, v3
	v_div_fmas_f32 v0, v0, v2, v4
	v_div_fixup_f32 v2, v0, v7, 1.0
.LBB22_34:
	v_add_nc_u32_e32 v0, s1, v1
	v_mov_b32_e32 v4, 0
	v_cvt_f32_f16_e32 v1, v12
	v_cvt_f32_f16_sdwa v6, v12 dst_sel:DWORD dst_unused:UNUSED_PAD src0_sel:WORD_1
	v_cvt_f32_f16_e32 v7, v17
	v_lshl_add_u32 v3, v0, 7, v11
	v_cvt_f32_f16_sdwa v8, v17 dst_sel:DWORD dst_unused:UNUSED_PAD src0_sel:WORD_1
	v_mul_f32_e32 v10, v2, v1
	v_mul_f32_e32 v11, v2, v6
	;; [unrolled: 1-line block ×3, first 2 shown]
	v_lshlrev_b64 v[3:4], 2, v[3:4]
	v_mul_f32_e32 v13, v2, v8
	v_add_co_u32 v1, vcc_lo, s20, v3
	v_add_co_ci_u32_e64 v2, null, s21, v4, vcc_lo
	global_store_dwordx4 v[1:2], v[10:13], off
	s_and_b32 exec_lo, exec_lo, s0
	s_cbranch_execz .LBB22_26
; %bb.35:
	v_ashrrev_i32_e32 v1, 31, v0
	v_mov_b32_e32 v8, v5
	v_lshlrev_b64 v[0:1], 3, v[0:1]
	v_add_co_u32 v0, vcc_lo, s22, v0
	v_add_co_ci_u32_e64 v1, null, s23, v1, vcc_lo
	global_store_dwordx2 v[0:1], v[8:9], off
	s_endpgm
	.section	.rodata,"a",@progbits
	.p2align	6, 0x0
	.amdhsa_kernel _ZL15flash_attn_tileILi192ELi128ELi2ELi8ELb1EEvPKcS1_S1_S1_S1_PKiPfP15HIP_vector_typeIfLj2EEffffjfiS5_IjLj3EEiiiiiiiiiiiliiliiiiil
		.amdhsa_group_segment_fixed_size 11776
		.amdhsa_private_segment_fixed_size 0
		.amdhsa_kernarg_size 464
		.amdhsa_user_sgpr_count 6
		.amdhsa_user_sgpr_private_segment_buffer 1
		.amdhsa_user_sgpr_dispatch_ptr 0
		.amdhsa_user_sgpr_queue_ptr 0
		.amdhsa_user_sgpr_kernarg_segment_ptr 1
		.amdhsa_user_sgpr_dispatch_id 0
		.amdhsa_user_sgpr_flat_scratch_init 0
		.amdhsa_user_sgpr_private_segment_size 0
		.amdhsa_wavefront_size32 1
		.amdhsa_uses_dynamic_stack 0
		.amdhsa_system_sgpr_private_segment_wavefront_offset 0
		.amdhsa_system_sgpr_workgroup_id_x 1
		.amdhsa_system_sgpr_workgroup_id_y 1
		.amdhsa_system_sgpr_workgroup_id_z 1
		.amdhsa_system_sgpr_workgroup_info 0
		.amdhsa_system_vgpr_workitem_id 1
		.amdhsa_next_free_vgpr 94
		.amdhsa_next_free_sgpr 40
		.amdhsa_reserve_vcc 1
		.amdhsa_reserve_flat_scratch 0
		.amdhsa_float_round_mode_32 0
		.amdhsa_float_round_mode_16_64 0
		.amdhsa_float_denorm_mode_32 3
		.amdhsa_float_denorm_mode_16_64 3
		.amdhsa_dx10_clamp 1
		.amdhsa_ieee_mode 1
		.amdhsa_fp16_overflow 0
		.amdhsa_workgroup_processor_mode 1
		.amdhsa_memory_ordered 1
		.amdhsa_forward_progress 1
		.amdhsa_shared_vgpr_count 0
		.amdhsa_exception_fp_ieee_invalid_op 0
		.amdhsa_exception_fp_denorm_src 0
		.amdhsa_exception_fp_ieee_div_zero 0
		.amdhsa_exception_fp_ieee_overflow 0
		.amdhsa_exception_fp_ieee_underflow 0
		.amdhsa_exception_fp_ieee_inexact 0
		.amdhsa_exception_int_div_zero 0
	.end_amdhsa_kernel
	.section	.text._ZL15flash_attn_tileILi192ELi128ELi2ELi8ELb1EEvPKcS1_S1_S1_S1_PKiPfP15HIP_vector_typeIfLj2EEffffjfiS5_IjLj3EEiiiiiiiiiiiliiliiiiil,"axG",@progbits,_ZL15flash_attn_tileILi192ELi128ELi2ELi8ELb1EEvPKcS1_S1_S1_S1_PKiPfP15HIP_vector_typeIfLj2EEffffjfiS5_IjLj3EEiiiiiiiiiiiliiliiiiil,comdat
.Lfunc_end22:
	.size	_ZL15flash_attn_tileILi192ELi128ELi2ELi8ELb1EEvPKcS1_S1_S1_S1_PKiPfP15HIP_vector_typeIfLj2EEffffjfiS5_IjLj3EEiiiiiiiiiiiliiliiiiil, .Lfunc_end22-_ZL15flash_attn_tileILi192ELi128ELi2ELi8ELb1EEvPKcS1_S1_S1_S1_PKiPfP15HIP_vector_typeIfLj2EEffffjfiS5_IjLj3EEiiiiiiiiiiiliiliiiiil
                                        ; -- End function
	.set _ZL15flash_attn_tileILi192ELi128ELi2ELi8ELb1EEvPKcS1_S1_S1_S1_PKiPfP15HIP_vector_typeIfLj2EEffffjfiS5_IjLj3EEiiiiiiiiiiiliiliiiiil.num_vgpr, 94
	.set _ZL15flash_attn_tileILi192ELi128ELi2ELi8ELb1EEvPKcS1_S1_S1_S1_PKiPfP15HIP_vector_typeIfLj2EEffffjfiS5_IjLj3EEiiiiiiiiiiiliiliiiiil.num_agpr, 0
	.set _ZL15flash_attn_tileILi192ELi128ELi2ELi8ELb1EEvPKcS1_S1_S1_S1_PKiPfP15HIP_vector_typeIfLj2EEffffjfiS5_IjLj3EEiiiiiiiiiiiliiliiiiil.numbered_sgpr, 40
	.set _ZL15flash_attn_tileILi192ELi128ELi2ELi8ELb1EEvPKcS1_S1_S1_S1_PKiPfP15HIP_vector_typeIfLj2EEffffjfiS5_IjLj3EEiiiiiiiiiiiliiliiiiil.num_named_barrier, 0
	.set _ZL15flash_attn_tileILi192ELi128ELi2ELi8ELb1EEvPKcS1_S1_S1_S1_PKiPfP15HIP_vector_typeIfLj2EEffffjfiS5_IjLj3EEiiiiiiiiiiiliiliiiiil.private_seg_size, 0
	.set _ZL15flash_attn_tileILi192ELi128ELi2ELi8ELb1EEvPKcS1_S1_S1_S1_PKiPfP15HIP_vector_typeIfLj2EEffffjfiS5_IjLj3EEiiiiiiiiiiiliiliiiiil.uses_vcc, 1
	.set _ZL15flash_attn_tileILi192ELi128ELi2ELi8ELb1EEvPKcS1_S1_S1_S1_PKiPfP15HIP_vector_typeIfLj2EEffffjfiS5_IjLj3EEiiiiiiiiiiiliiliiiiil.uses_flat_scratch, 0
	.set _ZL15flash_attn_tileILi192ELi128ELi2ELi8ELb1EEvPKcS1_S1_S1_S1_PKiPfP15HIP_vector_typeIfLj2EEffffjfiS5_IjLj3EEiiiiiiiiiiiliiliiiiil.has_dyn_sized_stack, 0
	.set _ZL15flash_attn_tileILi192ELi128ELi2ELi8ELb1EEvPKcS1_S1_S1_S1_PKiPfP15HIP_vector_typeIfLj2EEffffjfiS5_IjLj3EEiiiiiiiiiiiliiliiiiil.has_recursion, 0
	.set _ZL15flash_attn_tileILi192ELi128ELi2ELi8ELb1EEvPKcS1_S1_S1_S1_PKiPfP15HIP_vector_typeIfLj2EEffffjfiS5_IjLj3EEiiiiiiiiiiiliiliiiiil.has_indirect_call, 0
	.section	.AMDGPU.csdata,"",@progbits
; Kernel info:
; codeLenInByte = 11212
; TotalNumSgprs: 42
; NumVgprs: 94
; ScratchSize: 0
; MemoryBound: 0
; FloatMode: 240
; IeeeMode: 1
; LDSByteSize: 11776 bytes/workgroup (compile time only)
; SGPRBlocks: 0
; VGPRBlocks: 11
; NumSGPRsForWavesPerEU: 42
; NumVGPRsForWavesPerEU: 94
; Occupancy: 10
; WaveLimiterHint : 1
; COMPUTE_PGM_RSRC2:SCRATCH_EN: 0
; COMPUTE_PGM_RSRC2:USER_SGPR: 6
; COMPUTE_PGM_RSRC2:TRAP_HANDLER: 0
; COMPUTE_PGM_RSRC2:TGID_X_EN: 1
; COMPUTE_PGM_RSRC2:TGID_Y_EN: 1
; COMPUTE_PGM_RSRC2:TGID_Z_EN: 1
; COMPUTE_PGM_RSRC2:TIDIG_COMP_CNT: 1
	.section	.text._ZL15flash_attn_tileILi192ELi128ELi1ELi8ELb1EEvPKcS1_S1_S1_S1_PKiPfP15HIP_vector_typeIfLj2EEffffjfiS5_IjLj3EEiiiiiiiiiiiliiliiiiil,"axG",@progbits,_ZL15flash_attn_tileILi192ELi128ELi1ELi8ELb1EEvPKcS1_S1_S1_S1_PKiPfP15HIP_vector_typeIfLj2EEffffjfiS5_IjLj3EEiiiiiiiiiiiliiliiiiil,comdat
	.globl	_ZL15flash_attn_tileILi192ELi128ELi1ELi8ELb1EEvPKcS1_S1_S1_S1_PKiPfP15HIP_vector_typeIfLj2EEffffjfiS5_IjLj3EEiiiiiiiiiiiliiliiiiil ; -- Begin function _ZL15flash_attn_tileILi192ELi128ELi1ELi8ELb1EEvPKcS1_S1_S1_S1_PKiPfP15HIP_vector_typeIfLj2EEffffjfiS5_IjLj3EEiiiiiiiiiiiliiliiiiil
	.p2align	8
	.type	_ZL15flash_attn_tileILi192ELi128ELi1ELi8ELb1EEvPKcS1_S1_S1_S1_PKiPfP15HIP_vector_typeIfLj2EEffffjfiS5_IjLj3EEiiiiiiiiiiiliiliiiiil,@function
_ZL15flash_attn_tileILi192ELi128ELi1ELi8ELb1EEvPKcS1_S1_S1_S1_PKiPfP15HIP_vector_typeIfLj2EEffffjfiS5_IjLj3EEiiiiiiiiiiiliiliiiiil: ; @_ZL15flash_attn_tileILi192ELi128ELi1ELi8ELb1EEvPKcS1_S1_S1_S1_PKiPfP15HIP_vector_typeIfLj2EEffffjfiS5_IjLj3EEiiiiiiiiiiiliiliiiiil
; %bb.0:
	s_clause 0x1
	s_load_dwordx4 s[0:3], s[4:5], 0x5c
	s_load_dwordx2 s[30:31], s[4:5], 0x80
	s_mov_b32 s28, s7
	s_mov_b64 s[34:35], 0
	s_waitcnt lgkmcnt(0)
	s_ashr_i32 s7, s3, 31
	s_lshr_b32 s7, s7, 29
	s_add_i32 s7, s3, s7
	s_ashr_i32 s7, s7, 3
	v_cvt_f32_u32_e32 v2, s7
	s_sub_i32 s10, 0, s7
	v_rcp_iflag_f32_e32 v2, v2
	v_mul_f32_e32 v2, 0x4f7ffffe, v2
	v_cvt_u32_f32_e32 v2, v2
	v_readfirstlane_b32 s9, v2
	s_mul_i32 s10, s10, s9
	s_mul_hi_u32 s10, s9, s10
	s_add_i32 s9, s9, s10
	s_mul_hi_u32 s9, s8, s9
	s_mul_i32 s10, s9, s7
	s_add_i32 s11, s9, 1
	s_sub_i32 s10, s8, s10
	s_sub_i32 s12, s10, s7
	s_cmp_ge_u32 s10, s7
	s_cselect_b32 s9, s11, s9
	s_cselect_b32 s10, s12, s10
	s_add_i32 s11, s9, 1
	s_cmp_ge_u32 s10, s7
	s_cselect_b32 s7, s11, s9
	s_abs_i32 s9, s31
	s_lshl_b32 s8, s8, 3
	v_cvt_f32_u32_e32 v2, s9
	s_sub_i32 s11, 0, s9
	s_mul_i32 s12, s7, s3
	s_abs_i32 s13, s3
	s_sub_i32 s29, s8, s12
	v_rcp_iflag_f32_e32 v2, v2
	v_mul_f32_e32 v2, 0x4f7ffffe, v2
	v_cvt_u32_f32_e32 v2, v2
	v_readfirstlane_b32 s10, v2
	s_mul_i32 s11, s11, s10
	s_mul_hi_u32 s11, s10, s11
	s_add_i32 s10, s10, s11
	s_mul_hi_u32 s8, s13, s10
	s_xor_b32 s10, s3, s31
	s_mul_i32 s11, s8, s9
	s_ashr_i32 s10, s10, 31
	s_sub_i32 s11, s13, s11
	s_add_i32 s12, s8, 1
	s_sub_i32 s13, s11, s9
	s_cmp_ge_u32 s11, s9
	s_cselect_b32 s8, s12, s8
	s_cselect_b32 s11, s13, s11
	s_add_i32 s12, s8, 1
	s_cmp_ge_u32 s11, s9
	s_cselect_b32 s8, s12, s8
	s_xor_b32 s8, s8, s10
	s_sub_i32 s33, s8, s10
	s_clause 0x1
	s_load_dwordx16 s[8:23], s[4:5], 0x0
	s_load_dwordx2 s[36:37], s[4:5], 0xb8
	s_abs_i32 s31, s33
	v_cvt_f32_u32_e32 v2, s31
	v_rcp_iflag_f32_e32 v2, v2
	v_mul_f32_e32 v2, 0x4f7ffffe, v2
	s_waitcnt lgkmcnt(0)
	s_cmp_eq_u64 s[14:15], 0
	v_cvt_u32_f32_e32 v2, v2
	v_readfirstlane_b32 s38, v2
	s_cbranch_scc1 .LBB23_2
; %bb.1:
	s_abs_i32 s26, s36
	s_abs_i32 s27, s7
	v_cvt_f32_u32_e32 v2, s26
	s_sub_i32 s25, 0, s26
	v_rcp_iflag_f32_e32 v2, v2
	v_mul_f32_e32 v2, 0x4f7ffffe, v2
	v_cvt_u32_f32_e32 v2, v2
	v_readfirstlane_b32 s24, v2
	s_mul_i32 s25, s25, s24
	s_mul_hi_u32 s25, s24, s25
	s_add_i32 s24, s24, s25
	s_mul_hi_u32 s34, s27, s24
	s_load_dwordx2 s[24:25], s[4:5], 0xc8
	s_mul_i32 s34, s34, s26
	s_sub_i32 s27, s27, s34
	s_ashr_i32 s34, s7, 31
	s_sub_i32 s35, s27, s26
	s_cmp_ge_u32 s27, s26
	s_cselect_b32 s27, s35, s27
	s_sub_i32 s35, s27, s26
	s_cmp_ge_u32 s27, s26
	s_cselect_b32 s26, s35, s27
	s_xor_b32 s26, s26, s34
	s_sub_i32 s26, s26, s34
	s_ashr_i32 s27, s26, 31
	s_waitcnt lgkmcnt(0)
	s_mul_hi_u32 s34, s24, s26
	s_mul_i32 s27, s24, s27
	s_mul_i32 s25, s25, s26
	s_add_i32 s27, s34, s27
	s_mul_i32 s24, s24, s26
	s_add_i32 s27, s27, s25
	s_add_u32 s34, s14, s24
	s_addc_u32 s35, s15, s27
.LBB23_2:
	v_lshrrev_b32_e32 v2, 2, v1
	s_load_dwordx4 s[24:27], s[4:5], 0x70
	v_lshlrev_b32_e32 v5, 1, v1
	v_lshlrev_b32_e32 v23, 3, v0
	v_add_nc_u32_e32 v9, s6, v2
	v_and_b32_e32 v22, 6, v5
	v_mul_hi_u32 v2, s0, v9
	v_add_nc_u32_e32 v2, v9, v2
	s_waitcnt lgkmcnt(0)
	s_mul_i32 s0, s7, s26
	s_mov_b32 s14, s25
	v_lshrrev_b32_e32 v2, s1, v2
	s_mul_i32 s1, s29, s25
	s_ashr_i32 s15, s0, 31
	s_add_u32 s0, s8, s0
	s_addc_u32 s8, s9, s15
	v_mul_lo_u32 v2, v2, s2
	s_ashr_i32 s9, s1, 31
	s_add_u32 s26, s0, s1
	s_addc_u32 s8, s8, s9
	s_ashr_i32 s15, s25, 31
	s_ashr_i32 s25, s24, 31
	s_lshr_b64 s[0:1], s[24:25], 2
	v_sub_nc_u32_e32 v4, v9, v2
	s_lshr_b32 s9, s25, 2
	v_mad_u64_u32 v[2:3], null, s0, v4, 0
	s_lshr_b64 s[0:1], s[14:15], 2
	v_mad_u64_u32 v[6:7], null, s0, v22, 0
	v_mad_u64_u32 v[10:11], null, s9, v4, v[3:4]
	s_lshr_b32 s9, s15, 2
	v_mad_u64_u32 v[7:8], null, s9, v22, v[7:8]
	v_lshlrev_b32_e32 v8, 4, v0
	v_mov_b32_e32 v3, v10
	v_lshlrev_b64 v[2:3], 2, v[2:3]
	v_add_co_u32 v10, vcc_lo, s26, v2
	v_add_co_ci_u32_e64 v11, null, s8, v3, vcc_lo
	v_lshlrev_b64 v[2:3], 2, v[6:7]
	v_add_co_u32 v8, vcc_lo, v10, v8
	v_add_co_ci_u32_e64 v10, null, 0, v11, vcc_lo
	s_load_dword s8, s[4:5], 0x40
	v_add_co_u32 v2, vcc_lo, v8, v2
	v_add_co_ci_u32_e64 v3, null, v10, v3, vcc_lo
	v_cmp_gt_u32_e32 vcc_lo, 16, v0
	global_load_dwordx4 v[11:14], v[2:3], off
	s_waitcnt vmcnt(0) lgkmcnt(0)
	v_fma_mixlo_f16 v6, s8, v12, 0
	v_fma_mixlo_f16 v7, s8, v11, 0
	;; [unrolled: 1-line block ×4, first 2 shown]
	v_lshlrev_b32_e32 v6, 16, v6
	v_and_b32_e32 v13, 0xffff, v7
	v_add_nc_u32_e32 v7, 0x1200, v23
	v_lshlrev_b32_e32 v12, 16, v12
	v_and_b32_e32 v11, 0xffff, v11
	v_or_b32_e32 v13, v6, v13
	v_mul_u32_u24_e32 v6, 0x300, v1
	v_mad_u32_u24 v14, 0x300, v1, v7
	v_or3_b32 v12, v12, v11, 0
	v_or3_b32 v11, 0, 0, v13
	ds_write_b64 v14, v[11:12]
	s_and_saveexec_b32 s9, vcc_lo
	s_cbranch_execz .LBB23_4
; %bb.3:
	global_load_dwordx4 v[11:14], v[2:3], off offset:512
	s_waitcnt vmcnt(0)
	v_fma_mixlo_f16 v2, s8, v12, 0
	v_fma_mixlo_f16 v3, s8, v11, 0
	;; [unrolled: 1-line block ×4, first 2 shown]
	v_lshlrev_b32_e32 v2, 16, v2
	v_and_b32_e32 v3, 0xffff, v3
	v_and_b32_e32 v11, 0xffff, v11
	v_lshlrev_b32_e32 v12, 16, v12
	v_or_b32_e32 v2, v2, v3
	v_or3_b32 v3, v12, v11, 0
	v_add_nc_u32_e32 v11, v7, v6
	v_or3_b32 v2, 0, 0, v2
	ds_write_b64 v11, v[2:3] offset:256
.LBB23_4:
	s_or_b32 exec_lo, exec_lo, s9
	v_or_b32_e32 v11, 1, v5
	v_and_b32_e32 v12, 7, v11
	v_mad_u64_u32 v[2:3], null, s0, v12, 0
	v_mad_u64_u32 v[12:13], null, s1, v12, v[3:4]
	v_mov_b32_e32 v3, v12
	v_lshlrev_b64 v[2:3], 2, v[2:3]
	v_add_co_u32 v2, s0, v8, v2
	v_add_co_ci_u32_e64 v3, null, v10, v3, s0
	global_load_dwordx4 v[12:15], v[2:3], off
	s_waitcnt vmcnt(0)
	v_fma_mixlo_f16 v8, s8, v13, 0
	v_fma_mixlo_f16 v10, s8, v12, 0
	;; [unrolled: 1-line block ×4, first 2 shown]
	v_lshlrev_b32_e32 v8, 16, v8
	v_and_b32_e32 v10, 0xffff, v10
	v_and_b32_e32 v12, 0xffff, v12
	v_lshlrev_b32_e32 v13, 16, v13
	v_or_b32_e32 v8, v8, v10
	v_mad_u32_u24 v10, 0x180, v11, v7
	v_or3_b32 v13, v13, v12, 0
	v_or3_b32 v12, 0, 0, v8
	ds_write_b64 v10, v[12:13]
	s_and_saveexec_b32 s0, vcc_lo
	s_cbranch_execz .LBB23_6
; %bb.5:
	global_load_dwordx4 v[12:15], v[2:3], off offset:512
	v_mul_u32_u24_e32 v11, 0x180, v11
	v_add_nc_u32_e32 v7, v7, v11
	s_waitcnt vmcnt(0)
	v_fma_mixlo_f16 v2, s8, v13, 0
	v_fma_mixlo_f16 v3, s8, v12, 0
	v_fma_mixlo_f16 v8, s8, v14, 0
	v_fma_mixlo_f16 v10, s8, v15, 0
	v_lshlrev_b32_e32 v2, 16, v2
	v_and_b32_e32 v3, 0xffff, v3
	v_and_b32_e32 v8, 0xffff, v8
	v_lshlrev_b32_e32 v10, 16, v10
	v_or_b32_e32 v2, v2, v3
	v_or3_b32 v3, v10, v8, 0
	v_or3_b32 v2, 0, 0, v2
	ds_write_b64 v7, v[2:3] offset:256
.LBB23_6:
	s_or_b32 exec_lo, exec_lo, s0
	s_cmp_eq_u64 s[18:19], 0
	s_waitcnt lgkmcnt(0)
	s_barrier
	buffer_gl0_inv
	s_cbranch_scc1 .LBB23_8
; %bb.7:
	s_load_dword s0, s[4:5], 0xd0
	s_mov_b32 s1, 0
	s_waitcnt lgkmcnt(0)
	s_mul_i32 s0, s0, s7
	s_add_i32 s0, s0, s6
	s_lshl_b64 s[0:1], s[0:1], 2
	s_add_u32 s0, s18, s0
	s_addc_u32 s1, s19, s1
	s_load_dword s30, s[0:1], 0x0
.LBB23_8:
	v_mbcnt_lo_u32_b32 v24, -1, 0
	s_lshl_b32 s6, s28, 5
	s_waitcnt lgkmcnt(0)
	s_cmp_lt_i32 s6, s30
	s_cbranch_scc1 .LBB23_11
; %bb.9:
	v_mbcnt_lo_u32_b32 v2, -1, 0
	v_mov_b32_e32 v25, 32
	v_xor_b32_e32 v48, 16, v2
	v_xor_b32_e32 v44, 8, v2
	;; [unrolled: 1-line block ×5, first 2 shown]
	v_lshlrev_b32_e32 v21, 2, v0
	s_cbranch_execz .LBB23_12
; %bb.10:
	v_mov_b32_e32 v38, 0
	v_mov_b32_e32 v49, 0
	;; [unrolled: 1-line block ×8, first 2 shown]
	s_branch .LBB23_24
.LBB23_11:
                                        ; implicit-def: $vgpr2
                                        ; implicit-def: $vgpr25
                                        ; implicit-def: $vgpr48
                                        ; implicit-def: $vgpr44
                                        ; implicit-def: $vgpr45
                                        ; implicit-def: $vgpr46
                                        ; implicit-def: $vgpr47
	v_lshlrev_b32_e32 v21, 2, v0
.LBB23_12:
	s_clause 0x1
	s_load_dwordx4 s[24:27], s[4:5], 0x98
	s_load_dwordx2 s[0:1], s[4:5], 0x8c
	s_sub_i32 s8, 0, s31
	s_abs_i32 s14, s29
	s_mul_i32 s8, s8, s38
	s_ashr_i32 s36, s37, 1
	s_mul_hi_u32 s8, s38, s8
	v_lshrrev_b32_e32 v2, 3, v0
	s_add_i32 s38, s38, s8
	v_lshrrev_b32_e32 v7, 4, v0
	s_mul_hi_u32 s37, s14, s38
	s_ashr_i32 s38, s7, 31
	s_ashr_i32 s15, s29, 31
	;; [unrolled: 1-line block ×3, first 2 shown]
	s_load_dwordx2 s[18:19], s[4:5], 0xa8
	s_mul_i32 s39, s37, s31
	v_lshl_add_u32 v3, v1, 2, v2
	v_add_nc_u32_e32 v10, v7, v5
	v_and_b32_e32 v13, 28, v21
	v_and_b32_e32 v19, 60, v21
	s_waitcnt lgkmcnt(0)
	s_ashr_i32 s8, s26, 2
	s_ashr_i32 s9, s0, 2
	s_mul_hi_u32 s0, s24, s7
	s_mul_i32 s26, s24, s38
	s_mul_i32 s25, s25, s7
	s_add_i32 s0, s0, s26
	s_mul_i32 s24, s24, s7
	s_add_i32 s0, s0, s25
	s_add_u32 s24, s10, s24
	s_addc_u32 s0, s11, s0
	s_sub_i32 s10, s14, s39
	s_xor_b32 s11, s15, s33
	s_add_i32 s14, s37, 1
	s_sub_i32 s15, s10, s31
	s_cmp_ge_u32 s10, s31
	v_mul_lo_u32 v2, s9, v3
	s_cselect_b32 s14, s14, s37
	s_cselect_b32 s10, s15, s10
	v_mul_lo_u32 v5, s8, v10
	s_add_i32 s15, s14, 1
	s_cmp_ge_u32 s10, s31
	s_load_dword s10, s[4:5], 0x54
	s_cselect_b32 s14, s15, s14
	v_lshlrev_b32_e32 v8, 2, v13
	s_xor_b32 s14, s14, s11
	v_lshl_add_u32 v7, s9, 4, v2
	s_sub_i32 s25, s14, s11
	v_lshl_add_u32 v17, s8, 3, v5
	v_lshlrev_b32_e32 v11, 2, v19
	s_mul_i32 s1, s25, s1
	s_mul_hi_u32 s15, s18, s7
	s_mul_i32 s26, s18, s38
	s_ashr_i32 s14, s1, 31
	s_add_u32 s11, s24, s1
	v_mad_u32_u24 v28, 0x90, v3, v8
	v_ashrrev_i32_e32 v3, 31, v2
	v_ashrrev_i32_e32 v8, 31, v7
	v_add_nc_u32_e32 v31, 0x1200, v6
	v_ashrrev_i32_e32 v6, 31, v5
	v_ashrrev_i32_e32 v18, 31, v17
	s_mul_i32 s19, s19, s7
	s_addc_u32 s14, s0, s14
	s_add_i32 s0, s15, s26
	v_lshl_or_b32 v32, v10, 8, v11
	s_mul_i32 s1, s18, s7
	s_add_i32 s0, s0, s19
	s_mul_i32 s25, s25, s27
	v_mad_u64_u32 v[10:11], null, v4, s36, v[0:1]
	s_add_u32 s1, s12, s1
	s_addc_u32 s0, s13, s0
	s_ashr_i32 s13, s25, 31
	v_lshlrev_b64 v[11:12], 2, v[2:3]
	v_lshlrev_b32_e32 v35, 2, v13
	v_lshlrev_b64 v[13:14], 2, v[7:8]
	v_lshlrev_b64 v[15:16], 2, v[5:6]
	;; [unrolled: 1-line block ×3, first 2 shown]
	s_add_u32 s12, s1, s25
	v_mov_b32_e32 v26, 0
	v_add_nc_u32_e32 v29, 0x900, v28
	v_mul_u32_u24_e32 v30, 0x90, v0
	v_lshl_add_u32 v33, v1, 7, 0x1e00
	v_add_nc_u32_e32 v34, 0x800, v32
	v_mov_b32_e32 v42, 0xfeffffff
	v_mov_b32_e32 v25, 32
	v_lshlrev_b32_e32 v36, 2, v19
	v_mov_b32_e32 v37, 0x10001
	v_mov_b32_e32 v27, 0
	;; [unrolled: 1-line block ×7, first 2 shown]
	s_addc_u32 s13, s0, s13
	s_add_u32 s0, s4, 0xd0
	s_addc_u32 s1, s5, 0
	s_mov_b32 s15, 0xbbbac73d
.LBB23_13:                              ; =>This Inner Loop Header: Depth=1
	s_mul_hi_i32 s19, s6, s9
	s_mul_i32 s18, s6, s9
	v_mov_b32_e32 v19, 0
	s_lshl_b64 s[18:19], s[18:19], 2
	s_add_u32 s18, s11, s18
	s_addc_u32 s19, s14, s19
	v_add_co_u32 v1, vcc_lo, s18, v11
	v_add_co_ci_u32_e64 v2, null, s19, v12, vcc_lo
	v_add_co_u32 v3, vcc_lo, s18, v13
	v_add_co_ci_u32_e64 v4, null, s19, v14, vcc_lo
	;; [unrolled: 2-line block ×4, first 2 shown]
	s_clause 0x1
	global_load_dwordx4 v[5:8], v[1:2], off
	global_load_dwordx4 v[44:47], v[3:4], off
	s_waitcnt vmcnt(1)
	ds_write_b128 v28, v[5:8]
	s_waitcnt vmcnt(0)
	ds_write_b128 v29, v[44:47]
	s_waitcnt lgkmcnt(0)
	s_barrier
	buffer_gl0_inv
	ds_read_b128 v[44:47], v30
	ds_read_b128 v[48:51], v31
	ds_read_b128 v[52:55], v31 offset:384
	v_mov_b32_e32 v5, 0
	v_add_nc_u32_e32 v6, s6, v10
	s_waitcnt lgkmcnt(1)
	;;#ASMSTART
	v_dot2_f32_f16 v5, v44, v48, v5
	;;#ASMEND
	;;#ASMSTART
	v_dot2_f32_f16 v5, v45, v49, v5
	;;#ASMEND
	;; [unrolled: 3-line block ×4, first 2 shown]
	s_waitcnt lgkmcnt(0)
	;;#ASMSTART
	v_dot2_f32_f16 v19, v44, v52, v19
	;;#ASMEND
	;;#ASMSTART
	v_dot2_f32_f16 v19, v45, v53, v19
	;;#ASMEND
	;; [unrolled: 3-line block ×4, first 2 shown]
	ds_read_b128 v[44:47], v30 offset:16
	ds_read_b128 v[48:51], v31 offset:16
	;; [unrolled: 1-line block ×3, first 2 shown]
	v_ashrrev_i32_e32 v7, 31, v6
	s_waitcnt lgkmcnt(1)
	;;#ASMSTART
	v_dot2_f32_f16 v5, v44, v48, v5
	;;#ASMEND
	;;#ASMSTART
	v_dot2_f32_f16 v5, v45, v49, v5
	;;#ASMEND
	;; [unrolled: 3-line block ×4, first 2 shown]
	s_waitcnt lgkmcnt(0)
	;;#ASMSTART
	v_dot2_f32_f16 v19, v44, v52, v19
	;;#ASMEND
	;;#ASMSTART
	v_dot2_f32_f16 v19, v45, v53, v19
	;;#ASMEND
	;; [unrolled: 3-line block ×4, first 2 shown]
	ds_read_b128 v[44:47], v30 offset:32
	ds_read_b128 v[48:51], v31 offset:32
	;; [unrolled: 1-line block ×3, first 2 shown]
	v_lshlrev_b64 v[6:7], 1, v[6:7]
	s_waitcnt lgkmcnt(1)
	;;#ASMSTART
	v_dot2_f32_f16 v5, v44, v48, v5
	;;#ASMEND
	;;#ASMSTART
	v_dot2_f32_f16 v5, v45, v49, v5
	;;#ASMEND
	;; [unrolled: 3-line block ×4, first 2 shown]
	s_waitcnt lgkmcnt(0)
	;;#ASMSTART
	v_dot2_f32_f16 v19, v44, v52, v19
	;;#ASMEND
	;;#ASMSTART
	v_dot2_f32_f16 v19, v45, v53, v19
	;;#ASMEND
	;; [unrolled: 3-line block ×4, first 2 shown]
	ds_read_b128 v[44:47], v30 offset:48
	ds_read_b128 v[48:51], v31 offset:48
	;; [unrolled: 1-line block ×3, first 2 shown]
	v_add_co_u32 v6, vcc_lo, s34, v6
	s_waitcnt lgkmcnt(1)
	;;#ASMSTART
	v_dot2_f32_f16 v5, v44, v48, v5
	;;#ASMEND
	;;#ASMSTART
	v_dot2_f32_f16 v5, v45, v49, v5
	;;#ASMEND
	;;#ASMSTART
	v_dot2_f32_f16 v5, v46, v50, v5
	;;#ASMEND
	;;#ASMSTART
	v_dot2_f32_f16 v5, v47, v51, v5
	;;#ASMEND
	s_waitcnt lgkmcnt(0)
	;;#ASMSTART
	v_dot2_f32_f16 v19, v44, v52, v19
	;;#ASMEND
	;;#ASMSTART
	v_dot2_f32_f16 v19, v45, v53, v19
	;;#ASMEND
	;;#ASMSTART
	v_dot2_f32_f16 v19, v46, v54, v19
	;;#ASMEND
	;;#ASMSTART
	v_dot2_f32_f16 v19, v47, v55, v19
	;;#ASMEND
	ds_read_b128 v[44:47], v30 offset:64
	ds_read_b128 v[48:51], v31 offset:64
	ds_read_b128 v[52:55], v31 offset:448
	s_waitcnt lgkmcnt(1)
	;;#ASMSTART
	v_dot2_f32_f16 v5, v44, v48, v5
	;;#ASMEND
	;;#ASMSTART
	v_dot2_f32_f16 v5, v45, v49, v5
	;;#ASMEND
	;;#ASMSTART
	v_dot2_f32_f16 v5, v46, v50, v5
	;;#ASMEND
	;;#ASMSTART
	v_dot2_f32_f16 v5, v47, v51, v5
	;;#ASMEND
	s_waitcnt lgkmcnt(0)
	;;#ASMSTART
	v_dot2_f32_f16 v19, v44, v52, v19
	;;#ASMEND
	;;#ASMSTART
	v_dot2_f32_f16 v19, v45, v53, v19
	;;#ASMEND
	;;#ASMSTART
	v_dot2_f32_f16 v19, v46, v54, v19
	;;#ASMEND
	;;#ASMSTART
	v_dot2_f32_f16 v19, v47, v55, v19
	;;#ASMEND
	ds_read_b128 v[44:47], v30 offset:80
	ds_read_b128 v[48:51], v31 offset:80
	ds_read_b128 v[52:55], v31 offset:464
	;; [unrolled: 29-line block ×4, first 2 shown]
	s_waitcnt lgkmcnt(1)
	;;#ASMSTART
	v_dot2_f32_f16 v5, v44, v48, v5
	;;#ASMEND
	;;#ASMSTART
	v_dot2_f32_f16 v5, v45, v49, v5
	;;#ASMEND
	;; [unrolled: 3-line block ×4, first 2 shown]
	s_waitcnt lgkmcnt(0)
	;;#ASMSTART
	v_dot2_f32_f16 v19, v44, v52, v19
	;;#ASMEND
	;;#ASMSTART
	v_dot2_f32_f16 v19, v45, v53, v19
	;;#ASMEND
	;; [unrolled: 3-line block ×4, first 2 shown]
	s_barrier
	buffer_gl0_inv
	s_clause 0x1
	global_load_dwordx4 v[44:47], v[1:2], off offset:128
	global_load_dwordx4 v[48:51], v[3:4], off offset:128
	v_add_co_ci_u32_e64 v7, null, s35, v7, vcc_lo
	s_waitcnt vmcnt(1)
	ds_write_b128 v28, v[44:47]
	s_waitcnt vmcnt(0)
	ds_write_b128 v29, v[48:51]
	s_waitcnt lgkmcnt(0)
	s_barrier
	buffer_gl0_inv
	ds_read_b128 v[44:47], v30
	ds_read_b128 v[48:51], v31 offset:128
	ds_read_b128 v[52:55], v31 offset:512
	s_waitcnt lgkmcnt(1)
	;;#ASMSTART
	v_dot2_f32_f16 v5, v44, v48, v5
	;;#ASMEND
	;;#ASMSTART
	v_dot2_f32_f16 v5, v45, v49, v5
	;;#ASMEND
	;;#ASMSTART
	v_dot2_f32_f16 v5, v46, v50, v5
	;;#ASMEND
	;;#ASMSTART
	v_dot2_f32_f16 v5, v47, v51, v5
	;;#ASMEND
	s_waitcnt lgkmcnt(0)
	;;#ASMSTART
	v_dot2_f32_f16 v19, v44, v52, v19
	;;#ASMEND
	;;#ASMSTART
	v_dot2_f32_f16 v19, v45, v53, v19
	;;#ASMEND
	;;#ASMSTART
	v_dot2_f32_f16 v19, v46, v54, v19
	;;#ASMEND
	;;#ASMSTART
	v_dot2_f32_f16 v19, v47, v55, v19
	;;#ASMEND
	ds_read_b128 v[44:47], v30 offset:16
	ds_read_b128 v[48:51], v31 offset:144
	ds_read_b128 v[52:55], v31 offset:528
	s_waitcnt lgkmcnt(1)
	;;#ASMSTART
	v_dot2_f32_f16 v5, v44, v48, v5
	;;#ASMEND
	;;#ASMSTART
	v_dot2_f32_f16 v5, v45, v49, v5
	;;#ASMEND
	;;#ASMSTART
	v_dot2_f32_f16 v5, v46, v50, v5
	;;#ASMEND
	;;#ASMSTART
	v_dot2_f32_f16 v5, v47, v51, v5
	;;#ASMEND
	s_waitcnt lgkmcnt(0)
	;;#ASMSTART
	v_dot2_f32_f16 v19, v44, v52, v19
	;;#ASMEND
	;;#ASMSTART
	v_dot2_f32_f16 v19, v45, v53, v19
	;;#ASMEND
	;;#ASMSTART
	v_dot2_f32_f16 v19, v46, v54, v19
	;;#ASMEND
	;;#ASMSTART
	v_dot2_f32_f16 v19, v47, v55, v19
	;;#ASMEND
	ds_read_b128 v[44:47], v30 offset:32
	;; [unrolled: 29-line block ×7, first 2 shown]
	ds_read_b128 v[48:51], v31 offset:240
	ds_read_b128 v[52:55], v31 offset:624
	s_waitcnt lgkmcnt(1)
	;;#ASMSTART
	v_dot2_f32_f16 v5, v44, v48, v5
	;;#ASMEND
	;;#ASMSTART
	v_dot2_f32_f16 v5, v45, v49, v5
	;;#ASMEND
	;; [unrolled: 3-line block ×4, first 2 shown]
	s_waitcnt lgkmcnt(0)
	;;#ASMSTART
	v_dot2_f32_f16 v19, v44, v52, v19
	;;#ASMEND
	;;#ASMSTART
	v_dot2_f32_f16 v19, v45, v53, v19
	;;#ASMEND
	;; [unrolled: 3-line block ×4, first 2 shown]
	s_barrier
	buffer_gl0_inv
	s_clause 0x1
	global_load_dwordx4 v[44:47], v[1:2], off offset:256
	global_load_dwordx4 v[1:4], v[3:4], off offset:256
	s_waitcnt vmcnt(1)
	ds_write_b128 v28, v[44:47]
	s_waitcnt vmcnt(0)
	ds_write_b128 v29, v[1:4]
	s_waitcnt lgkmcnt(0)
	s_barrier
	buffer_gl0_inv
	ds_read_b128 v[1:4], v30
	ds_read_b128 v[44:47], v31 offset:256
	ds_read_b128 v[48:51], v31 offset:640
	s_waitcnt lgkmcnt(1)
	;;#ASMSTART
	v_dot2_f32_f16 v5, v1, v44, v5
	;;#ASMEND
	;;#ASMSTART
	v_dot2_f32_f16 v5, v2, v45, v5
	;;#ASMEND
	;;#ASMSTART
	v_dot2_f32_f16 v5, v3, v46, v5
	;;#ASMEND
	;;#ASMSTART
	v_dot2_f32_f16 v5, v4, v47, v5
	;;#ASMEND
	s_waitcnt lgkmcnt(0)
	;;#ASMSTART
	v_dot2_f32_f16 v19, v1, v48, v19
	;;#ASMEND
	;;#ASMSTART
	v_dot2_f32_f16 v19, v2, v49, v19
	;;#ASMEND
	;;#ASMSTART
	v_dot2_f32_f16 v19, v3, v50, v19
	;;#ASMEND
	;;#ASMSTART
	v_dot2_f32_f16 v19, v4, v51, v19
	;;#ASMEND
	ds_read_b128 v[1:4], v30 offset:16
	ds_read_b128 v[44:47], v31 offset:272
	ds_read_b128 v[48:51], v31 offset:656
	s_waitcnt lgkmcnt(1)
	;;#ASMSTART
	v_dot2_f32_f16 v5, v1, v44, v5
	;;#ASMEND
	;;#ASMSTART
	v_dot2_f32_f16 v5, v2, v45, v5
	;;#ASMEND
	;;#ASMSTART
	v_dot2_f32_f16 v5, v3, v46, v5
	;;#ASMEND
	;;#ASMSTART
	v_dot2_f32_f16 v5, v4, v47, v5
	;;#ASMEND
	s_waitcnt lgkmcnt(0)
	;;#ASMSTART
	v_dot2_f32_f16 v19, v1, v48, v19
	;;#ASMEND
	;;#ASMSTART
	v_dot2_f32_f16 v19, v2, v49, v19
	;;#ASMEND
	;;#ASMSTART
	v_dot2_f32_f16 v19, v3, v50, v19
	;;#ASMEND
	;;#ASMSTART
	v_dot2_f32_f16 v19, v4, v51, v19
	;;#ASMEND
	ds_read_b128 v[1:4], v30 offset:32
	;; [unrolled: 29-line block ×7, first 2 shown]
	ds_read_b128 v[44:47], v31 offset:368
	ds_read_b128 v[48:51], v31 offset:752
	s_waitcnt lgkmcnt(1)
	;;#ASMSTART
	v_dot2_f32_f16 v5, v1, v44, v5
	;;#ASMEND
	;;#ASMSTART
	v_dot2_f32_f16 v5, v2, v45, v5
	;;#ASMEND
	;; [unrolled: 3-line block ×4, first 2 shown]
	s_waitcnt lgkmcnt(0)
	;;#ASMSTART
	v_dot2_f32_f16 v19, v1, v48, v19
	;;#ASMEND
	;;#ASMSTART
	v_dot2_f32_f16 v19, v2, v49, v19
	;;#ASMEND
	;; [unrolled: 3-line block ×4, first 2 shown]
	global_load_ushort v20, v[6:7], off
	v_cmp_ngt_f32_e64 s18, 0x3f200000, |v5|
                                        ; implicit-def: $vgpr1
	s_and_saveexec_b32 s19, s18
	s_xor_b32 s18, exec_lo, s19
	s_cbranch_execz .LBB23_15
; %bb.14:                               ;   in Loop: Header=BB23_13 Depth=1
	v_add_f32_e64 v1, |v5|, |v5|
	v_mul_f32_e32 v2, 0x3fb8aa3b, v1
	v_cmp_ngt_f32_e32 vcc_lo, 0xc2ce8ed0, v1
	v_rndne_f32_e32 v3, v2
	v_fma_f32 v4, 0x3fb8aa3b, v1, -v2
	v_sub_f32_e32 v2, v2, v3
	v_fmac_f32_e32 v4, 0x32a5705f, v1
	v_cvt_i32_f32_e32 v3, v3
	v_add_f32_e32 v2, v2, v4
	v_exp_f32_e32 v2, v2
	v_ldexp_f32 v2, v2, v3
	v_cndmask_b32_e32 v2, 0, v2, vcc_lo
	v_cmp_nlt_f32_e32 vcc_lo, 0x42b17218, v1
	v_cndmask_b32_e32 v1, 0x7f800000, v2, vcc_lo
	v_add_f32_e32 v1, 1.0, v1
	v_rcp_f32_e32 v1, v1
	v_fma_f32 v1, v1, -2.0, 1.0
.LBB23_15:                              ;   in Loop: Header=BB23_13 Depth=1
	s_andn2_saveexec_b32 s18, s18
	s_cbranch_execz .LBB23_17
; %bb.16:                               ;   in Loop: Header=BB23_13 Depth=1
	v_mul_f32_e32 v1, v5, v5
	v_fmaak_f32 v2, s15, v1, 0x3ca908c9
	v_fmaak_f32 v2, v1, v2, 0xbd5c1c4e
	;; [unrolled: 1-line block ×4, first 2 shown]
	v_mul_f32_e64 v2, |v5|, v2
	v_fma_f32 v1, v1, v2, |v5|
.LBB23_17:                              ;   in Loop: Header=BB23_13 Depth=1
	s_or_b32 exec_lo, exec_lo, s18
	v_bfi_b32 v1, 0x7fffffff, v1, v5
	v_xor_b32_e32 v48, 16, v24
	v_max_f32_e32 v3, v42, v42
	v_xor_b32_e32 v44, 8, v24
	v_xor_b32_e32 v45, 4, v24
	s_waitcnt vmcnt(0)
	v_fma_mix_f32 v49, s10, v1, v20 op_sel_hi:[0,0,1]
	v_cmp_gt_i32_e32 vcc_lo, 32, v48
	v_xor_b32_e32 v46, 2, v24
	v_xor_b32_e32 v47, 1, v24
	v_cmp_ngt_f32_e64 s18, 0x3f200000, |v19|
	v_add_f32_e32 v2, 0x40051340, v49
	v_cndmask_b32_e32 v1, v24, v48, vcc_lo
	v_cmp_gt_i32_e32 vcc_lo, 32, v44
                                        ; implicit-def: $vgpr57
	v_lshlrev_b32_e32 v50, 2, v1
	v_max_f32_e32 v1, v3, v2
	v_cndmask_b32_e32 v3, v24, v44, vcc_lo
	v_cmp_gt_i32_e32 vcc_lo, 32, v45
	ds_bpermute_b32 v2, v50, v1
	v_lshlrev_b32_e32 v51, 2, v3
	v_cndmask_b32_e32 v3, v24, v45, vcc_lo
	v_cmp_gt_i32_e32 vcc_lo, 32, v46
	v_lshlrev_b32_e32 v52, 2, v3
	v_cndmask_b32_e32 v3, v24, v46, vcc_lo
	v_cmp_gt_i32_e32 vcc_lo, 32, v47
	v_lshlrev_b32_e32 v53, 2, v3
	v_cndmask_b32_e32 v3, v24, v47, vcc_lo
	v_lshlrev_b32_e32 v55, 2, v3
	s_waitcnt lgkmcnt(0)
	v_max_f32_e32 v2, v2, v2
	v_max_f32_e32 v1, v1, v2
	ds_bpermute_b32 v2, v51, v1
	s_waitcnt lgkmcnt(0)
	v_max_f32_e32 v2, v2, v2
	v_max_f32_e32 v1, v1, v2
	ds_bpermute_b32 v2, v52, v1
	;; [unrolled: 4-line block ×4, first 2 shown]
	s_and_saveexec_b32 s19, s18
	s_xor_b32 s18, exec_lo, s19
	s_cbranch_execz .LBB23_19
; %bb.18:                               ;   in Loop: Header=BB23_13 Depth=1
	v_add_f32_e64 v1, |v19|, |v19|
	v_mul_f32_e32 v2, 0x3fb8aa3b, v1
	v_cmp_ngt_f32_e32 vcc_lo, 0xc2ce8ed0, v1
	v_rndne_f32_e32 v3, v2
	v_fma_f32 v4, 0x3fb8aa3b, v1, -v2
	v_sub_f32_e32 v2, v2, v3
	v_fmac_f32_e32 v4, 0x32a5705f, v1
	v_cvt_i32_f32_e32 v3, v3
	v_add_f32_e32 v2, v2, v4
	v_exp_f32_e32 v2, v2
	v_ldexp_f32 v2, v2, v3
	v_cndmask_b32_e32 v2, 0, v2, vcc_lo
	v_cmp_nlt_f32_e32 vcc_lo, 0x42b17218, v1
	v_cndmask_b32_e32 v1, 0x7f800000, v2, vcc_lo
	v_add_f32_e32 v1, 1.0, v1
	v_rcp_f32_e32 v1, v1
	v_fma_f32 v57, v1, -2.0, 1.0
.LBB23_19:                              ;   in Loop: Header=BB23_13 Depth=1
	s_andn2_saveexec_b32 s18, s18
	s_cbranch_execz .LBB23_21
; %bb.20:                               ;   in Loop: Header=BB23_13 Depth=1
	v_mul_f32_e32 v1, v19, v19
	v_fmaak_f32 v2, s15, v1, 0x3ca908c9
	v_fmaak_f32 v2, v1, v2, 0xbd5c1c4e
	;; [unrolled: 1-line block ×4, first 2 shown]
	v_mul_f32_e64 v2, |v19|, v2
	v_fma_f32 v57, v1, v2, |v19|
.LBB23_21:                              ;   in Loop: Header=BB23_13 Depth=1
	s_or_b32 exec_lo, exec_lo, s18
	s_mul_hi_i32 s19, s6, s8
	s_mul_i32 s18, s6, s8
	s_waitcnt lgkmcnt(0)
	s_lshl_b64 s[18:19], s[18:19], 2
	s_barrier
	s_add_u32 s18, s12, s18
	s_addc_u32 s19, s13, s19
	v_add_co_u32 v1, vcc_lo, s18, v15
	v_add_co_ci_u32_e64 v2, null, s19, v16, vcc_lo
	v_add_co_u32 v3, vcc_lo, s18, v17
	v_add_co_ci_u32_e64 v4, null, s19, v18, vcc_lo
	;; [unrolled: 2-line block ×4, first 2 shown]
	buffer_gl0_inv
	s_clause 0x1
	global_load_dwordx4 v[1:4], v[1:2], off
	global_load_dwordx4 v[5:8], v[5:6], off
	v_cvt_f32_f16_e32 v58, v20
	v_bfi_b32 v19, 0x7fffffff, v57, v19
	s_or_b32 s18, s6, 16
	s_mul_hi_i32 s19, s18, s8
	s_mul_i32 s18, s18, s8
	v_fmac_f32_e32 v58, s10, v19
	v_max_f32_e32 v19, v43, v43
	s_lshl_b64 s[18:19], s[18:19], 2
	s_add_u32 s18, s12, s18
	v_add_f32_e32 v20, 0x40051340, v58
	s_addc_u32 s19, s13, s19
	v_max_f32_e32 v19, v19, v20
	ds_bpermute_b32 v20, v50, v19
	v_max_f32_e32 v50, v56, v56
	s_waitcnt lgkmcnt(0)
	v_max_f32_e32 v20, v20, v20
	v_max_f32_e32 v19, v19, v20
	ds_bpermute_b32 v20, v51, v19
	v_max_f32_e32 v51, v54, v54
	s_waitcnt lgkmcnt(0)
	v_max_f32_e32 v20, v20, v20
	v_max_f32_e32 v19, v19, v20
	ds_bpermute_b32 v20, v52, v19
	s_waitcnt lgkmcnt(0)
	v_max_f32_e32 v20, v20, v20
	v_max_f32_e32 v19, v19, v20
	ds_bpermute_b32 v20, v53, v19
	;; [unrolled: 4-line block ×3, first 2 shown]
	s_waitcnt lgkmcnt(0)
	v_max_f32_e32 v52, v19, v19
	v_max_f32_e32 v19, v51, v50
	;; [unrolled: 1-line block ×3, first 2 shown]
	v_sub_f32_e32 v49, v49, v19
	v_sub_f32_e32 v42, v42, v19
	;; [unrolled: 1-line block ×3, first 2 shown]
	v_mul_f32_e32 v50, 0x3fb8aa3b, v49
	v_cmp_ngt_f32_e32 vcc_lo, 0xc2ce8ed0, v49
	v_sub_f32_e32 v43, v43, v20
	v_mul_f32_e32 v100, 0x3fb8aa3b, v42
	v_mul_f32_e32 v51, 0x3fb8aa3b, v52
	v_fma_f32 v53, 0x3fb8aa3b, v49, -v50
	v_rndne_f32_e32 v54, v50
	v_mul_f32_e32 v101, 0x3fb8aa3b, v43
	v_fma_f32 v102, 0x3fb8aa3b, v42, -v100
	v_fma_f32 v55, 0x3fb8aa3b, v52, -v51
	v_rndne_f32_e32 v56, v51
	v_fmac_f32_e32 v53, 0x32a5705f, v49
	v_sub_f32_e32 v50, v50, v54
	v_cvt_i32_f32_e32 v54, v54
	v_fmac_f32_e32 v55, 0x32a5705f, v52
	v_sub_f32_e32 v51, v51, v56
	v_cvt_i32_f32_e32 v56, v56
	v_add_f32_e32 v50, v50, v53
	v_rndne_f32_e32 v103, v100
	v_fma_f32 v104, 0x3fb8aa3b, v43, -v101
	v_add_f32_e32 v51, v51, v55
	v_add_nc_u32_e32 v55, v33, v21
	v_exp_f32_e32 v50, v50
	v_rndne_f32_e32 v105, v101
	v_fmac_f32_e32 v102, 0x32a5705f, v42
	v_exp_f32_e32 v53, v51
	v_add_nc_u32_e32 v51, 0x800, v23
	v_sub_f32_e32 v100, v100, v103
	v_fmac_f32_e32 v104, 0x32a5705f, v43
	v_sub_f32_e32 v101, v101, v105
	v_ldexp_f32 v50, v50, v54
	v_add_f32_e32 v100, v100, v102
	v_add_f32_e32 v101, v101, v104
	v_ldexp_f32 v53, v53, v56
	v_cvt_i32_f32_e32 v102, v103
	v_cndmask_b32_e32 v50, 0, v50, vcc_lo
	v_cmp_ngt_f32_e32 vcc_lo, 0xc2ce8ed0, v52
	v_exp_f32_e32 v100, v100
	v_exp_f32_e32 v101, v101
	v_cvt_i32_f32_e32 v103, v105
	v_cndmask_b32_e32 v53, 0, v53, vcc_lo
	v_add_co_u32 v54, vcc_lo, s18, v15
	v_add_co_ci_u32_e64 v56, null, s19, v16, vcc_lo
	v_cmp_nlt_f32_e32 vcc_lo, 0x42b17218, v49
	v_ldexp_f32 v100, v100, v102
	v_ldexp_f32 v101, v101, v103
	v_cndmask_b32_e32 v50, 0x7f800000, v50, vcc_lo
	v_cmp_nlt_f32_e32 vcc_lo, 0x42b17218, v52
	v_cvt_f16_f32_e32 v57, v50
	v_cndmask_b32_e32 v49, 0x7f800000, v53, vcc_lo
	v_add_co_u32 v52, vcc_lo, s18, v17
	v_add_co_ci_u32_e64 v53, null, s19, v18, vcc_lo
	v_cvt_f16_f32_e32 v58, v49
	v_add_co_u32 v92, vcc_lo, v54, v36
	v_add_co_ci_u32_e64 v93, null, 0, v56, vcc_lo
	v_add_co_u32 v96, vcc_lo, v52, v36
	v_pack_b32_f16 v54, v57, v58
	v_add_co_ci_u32_e64 v97, null, 0, v53, vcc_lo
	v_cmp_ngt_f32_e32 vcc_lo, 0xc2ce8ed0, v42
	ds_write_b32 v55, v54
	s_waitcnt vmcnt(1)
	ds_write_b128 v32, v[1:4]
	s_waitcnt vmcnt(0)
	ds_write_b128 v34, v[5:8]
	s_waitcnt lgkmcnt(0)
	s_barrier
	buffer_gl0_inv
	ds_read_b128 v[1:4], v33
	ds_read_b128 v[5:8], v33 offset:16
	ds_read2_b64 v[52:55], v23 offset1:32
	ds_read_b128 v[56:59], v33 offset:32
	ds_read_b128 v[60:63], v33 offset:48
	ds_read2_b64 v[64:67], v23 offset0:64 offset1:96
	ds_read2_b64 v[68:71], v23 offset0:128 offset1:160
	;; [unrolled: 1-line block ×3, first 2 shown]
	ds_read2_b64 v[76:79], v51 offset1:32
	ds_read2_b64 v[80:83], v51 offset0:64 offset1:96
	ds_read2_b64 v[84:87], v51 offset0:128 offset1:160
	;; [unrolled: 1-line block ×3, first 2 shown]
	s_waitcnt lgkmcnt(0)
	s_barrier
	buffer_gl0_inv
	s_clause 0x1
	global_load_dwordx4 v[92:95], v[92:93], off
	global_load_dwordx4 v[96:99], v[96:97], off
	v_cndmask_b32_e32 v100, 0, v100, vcc_lo
	v_cmp_ngt_f32_e32 vcc_lo, 0xc2ce8ed0, v43
	s_waitcnt vmcnt(1)
	ds_write_b128 v32, v[92:95]
	s_waitcnt vmcnt(0)
	ds_write_b128 v34, v[96:99]
	v_cndmask_b32_e32 v101, 0, v101, vcc_lo
	v_cmp_nlt_f32_e32 vcc_lo, 0x42b17218, v42
	v_mul_u32_u24_sdwa v102, v5, v37 dst_sel:DWORD dst_unused:UNUSED_PAD src0_sel:WORD_0 src1_sel:DWORD
	v_mul_u32_u24_sdwa v5, v5, v37 dst_sel:DWORD dst_unused:UNUSED_PAD src0_sel:WORD_1 src1_sel:DWORD
	v_mul_u32_u24_sdwa v103, v6, v37 dst_sel:DWORD dst_unused:UNUSED_PAD src0_sel:WORD_0 src1_sel:DWORD
	v_mul_u32_u24_sdwa v6, v6, v37 dst_sel:DWORD dst_unused:UNUSED_PAD src0_sel:WORD_1 src1_sel:DWORD
	v_cndmask_b32_e32 v42, 0x7f800000, v100, vcc_lo
	v_cmp_nlt_f32_e32 vcc_lo, 0x42b17218, v43
	v_mul_u32_u24_sdwa v104, v7, v37 dst_sel:DWORD dst_unused:UNUSED_PAD src0_sel:WORD_0 src1_sel:DWORD
	v_mul_u32_u24_sdwa v7, v7, v37 dst_sel:DWORD dst_unused:UNUSED_PAD src0_sel:WORD_1 src1_sel:DWORD
	v_mul_u32_u24_sdwa v105, v8, v37 dst_sel:DWORD dst_unused:UNUSED_PAD src0_sel:WORD_0 src1_sel:DWORD
	v_cvt_f16_f32_e32 v100, v42
	v_cndmask_b32_e32 v43, 0x7f800000, v101, vcc_lo
	v_fmac_f32_e32 v50, v40, v42
	v_mul_u32_u24_sdwa v40, v1, v37 dst_sel:DWORD dst_unused:UNUSED_PAD src0_sel:WORD_0 src1_sel:DWORD
	v_mul_u32_u24_sdwa v1, v1, v37 dst_sel:DWORD dst_unused:UNUSED_PAD src0_sel:WORD_1 src1_sel:DWORD
	v_mul_u32_u24_sdwa v100, v100, v37 dst_sel:DWORD dst_unused:UNUSED_PAD src0_sel:WORD_0 src1_sel:DWORD
	v_cvt_f16_f32_e32 v101, v43
	v_fmac_f32_e32 v49, v41, v43
	v_pk_mul_f16 v107, v52, v40
	v_pk_mul_f16 v52, v52, v1
	;; [unrolled: 1-line block ×3, first 2 shown]
	v_mul_u32_u24_sdwa v101, v101, v37 dst_sel:DWORD dst_unused:UNUSED_PAD src0_sel:WORD_0 src1_sel:DWORD
	v_mul_u32_u24_sdwa v41, v2, v37 dst_sel:DWORD dst_unused:UNUSED_PAD src0_sel:WORD_0 src1_sel:DWORD
	v_mul_u32_u24_sdwa v2, v2, v37 dst_sel:DWORD dst_unused:UNUSED_PAD src0_sel:WORD_1 src1_sel:DWORD
	v_mul_u32_u24_sdwa v42, v3, v37 dst_sel:DWORD dst_unused:UNUSED_PAD src0_sel:WORD_0 src1_sel:DWORD
	v_pk_fma_f16 v39, v53, v40, v39
	v_pk_mul_f16 v26, v26, v101
	v_pk_fma_f16 v27, v27, v101, v52
	v_mul_u32_u24_sdwa v3, v3, v37 dst_sel:DWORD dst_unused:UNUSED_PAD src0_sel:WORD_1 src1_sel:DWORD
	v_mul_u32_u24_sdwa v43, v4, v37 dst_sel:DWORD dst_unused:UNUSED_PAD src0_sel:WORD_0 src1_sel:DWORD
	v_pk_fma_f16 v39, v55, v41, v39
	v_pk_fma_f16 v1, v53, v1, v26
	v_pk_fma_f16 v26, v38, v100, v107
	v_mul_u32_u24_sdwa v4, v4, v37 dst_sel:DWORD dst_unused:UNUSED_PAD src0_sel:WORD_1 src1_sel:DWORD
	v_mul_u32_u24_sdwa v8, v8, v37 dst_sel:DWORD dst_unused:UNUSED_PAD src0_sel:WORD_1 src1_sel:DWORD
	v_pk_fma_f16 v39, v65, v42, v39
	v_pk_fma_f16 v1, v55, v2, v1
	v_pk_fma_f16 v26, v54, v41, v26
	v_pk_fma_f16 v2, v54, v2, v27
	v_mul_u32_u24_sdwa v106, v56, v37 dst_sel:DWORD dst_unused:UNUSED_PAD src0_sel:WORD_0 src1_sel:DWORD
	v_pk_fma_f16 v39, v67, v43, v39
	v_pk_fma_f16 v1, v65, v3, v1
	v_pk_fma_f16 v26, v64, v42, v26
	v_pk_fma_f16 v2, v64, v3, v2
	v_mul_u32_u24_sdwa v56, v56, v37 dst_sel:DWORD dst_unused:UNUSED_PAD src0_sel:WORD_1 src1_sel:DWORD
	v_pk_fma_f16 v39, v69, v102, v39
	v_pk_fma_f16 v1, v67, v4, v1
	v_pk_fma_f16 v26, v66, v43, v26
	v_pk_fma_f16 v2, v66, v4, v2
	v_mul_u32_u24_sdwa v38, v57, v37 dst_sel:DWORD dst_unused:UNUSED_PAD src0_sel:WORD_0 src1_sel:DWORD
	v_pk_fma_f16 v39, v71, v103, v39
	v_pk_fma_f16 v1, v69, v5, v1
	v_pk_fma_f16 v26, v68, v102, v26
	v_pk_fma_f16 v2, v68, v5, v2
	;; [unrolled: 10-line block ×4, first 2 shown]
	v_mul_u32_u24_sdwa v6, v59, v37 dst_sel:DWORD dst_unused:UNUSED_PAD src0_sel:WORD_1 src1_sel:DWORD
	v_mul_u32_u24_sdwa v7, v60, v37 dst_sel:DWORD dst_unused:UNUSED_PAD src0_sel:WORD_0 src1_sel:DWORD
	v_pk_fma_f16 v1, v79, v27, v1
	v_pk_fma_f16 v26, v78, v38, v26
	;; [unrolled: 1-line block ×4, first 2 shown]
	v_mul_u32_u24_sdwa v8, v60, v37 dst_sel:DWORD dst_unused:UNUSED_PAD src0_sel:WORD_1 src1_sel:DWORD
	v_pk_fma_f16 v1, v81, v4, v1
	v_pk_fma_f16 v3, v80, v3, v26
	;; [unrolled: 1-line block ×4, first 2 shown]
	v_mul_u32_u24_sdwa v40, v61, v37 dst_sel:DWORD dst_unused:UNUSED_PAD src0_sel:WORD_0 src1_sel:DWORD
	v_pk_fma_f16 v1, v83, v6, v1
	v_pk_fma_f16 v3, v82, v5, v3
	;; [unrolled: 1-line block ×3, first 2 shown]
	v_mul_u32_u24_sdwa v27, v61, v37 dst_sel:DWORD dst_unused:UNUSED_PAD src0_sel:WORD_1 src1_sel:DWORD
	v_pk_fma_f16 v6, v85, v7, v26
	v_pk_fma_f16 v1, v85, v8, v1
	v_pk_fma_f16 v3, v84, v7, v3
	v_pk_fma_f16 v2, v84, v8, v2
	v_mul_u32_u24_sdwa v4, v62, v37 dst_sel:DWORD dst_unused:UNUSED_PAD src0_sel:WORD_0 src1_sel:DWORD
	v_mul_u32_u24_sdwa v5, v62, v37 dst_sel:DWORD dst_unused:UNUSED_PAD src0_sel:WORD_1 src1_sel:DWORD
	v_pk_fma_f16 v6, v87, v40, v6
	v_pk_fma_f16 v1, v87, v27, v1
	;; [unrolled: 1-line block ×4, first 2 shown]
	s_waitcnt lgkmcnt(0)
	v_pk_fma_f16 v6, v89, v4, v6
	v_pk_fma_f16 v26, v89, v5, v1
	;; [unrolled: 1-line block ×4, first 2 shown]
	s_barrier
	buffer_gl0_inv
	ds_read_b128 v[1:4], v33 offset:64
	v_mul_u32_u24_sdwa v7, v63, v37 dst_sel:DWORD dst_unused:UNUSED_PAD src0_sel:WORD_0 src1_sel:DWORD
	v_mul_u32_u24_sdwa v8, v63, v37 dst_sel:DWORD dst_unused:UNUSED_PAD src0_sel:WORD_1 src1_sel:DWORD
	v_pk_fma_f16 v42, v91, v7, v6
	v_pk_fma_f16 v26, v91, v8, v26
	;; [unrolled: 1-line block ×4, first 2 shown]
	ds_read_b128 v[5:8], v33 offset:80
	ds_read2_b64 v[38:41], v23 offset1:32
	ds_read_b128 v[52:55], v33 offset:96
	ds_read_b128 v[56:59], v33 offset:112
	ds_read2_b64 v[60:63], v23 offset0:64 offset1:96
	ds_read2_b64 v[64:67], v23 offset0:128 offset1:160
	;; [unrolled: 1-line block ×3, first 2 shown]
	ds_read2_b64 v[72:75], v51 offset1:32
	ds_read2_b64 v[76:79], v51 offset0:64 offset1:96
	ds_read2_b64 v[80:83], v51 offset0:128 offset1:160
	;; [unrolled: 1-line block ×3, first 2 shown]
	s_waitcnt lgkmcnt(0)
	s_barrier
	buffer_gl0_inv
	s_load_dword s18, s[0:1], 0x4
	v_mul_u32_u24_sdwa v51, v1, v37 dst_sel:DWORD dst_unused:UNUSED_PAD src0_sel:WORD_0 src1_sel:DWORD
	v_mul_u32_u24_sdwa v1, v1, v37 dst_sel:DWORD dst_unused:UNUSED_PAD src0_sel:WORD_1 src1_sel:DWORD
	v_mul_u32_u24_sdwa v88, v2, v37 dst_sel:DWORD dst_unused:UNUSED_PAD src0_sel:WORD_0 src1_sel:DWORD
	v_mul_u32_u24_sdwa v2, v2, v37 dst_sel:DWORD dst_unused:UNUSED_PAD src0_sel:WORD_1 src1_sel:DWORD
	v_mul_u32_u24_sdwa v89, v3, v37 dst_sel:DWORD dst_unused:UNUSED_PAD src0_sel:WORD_0 src1_sel:DWORD
	v_pk_fma_f16 v27, v38, v51, v27
	v_pk_fma_f16 v38, v38, v1, v43
	;; [unrolled: 1-line block ×4, first 2 shown]
	v_mul_u32_u24_sdwa v3, v3, v37 dst_sel:DWORD dst_unused:UNUSED_PAD src0_sel:WORD_1 src1_sel:DWORD
	v_pk_fma_f16 v27, v40, v88, v27
	v_pk_fma_f16 v38, v40, v2, v38
	v_pk_fma_f16 v39, v41, v88, v42
	v_pk_fma_f16 v1, v41, v2, v1
	v_mul_u32_u24_sdwa v90, v4, v37 dst_sel:DWORD dst_unused:UNUSED_PAD src0_sel:WORD_0 src1_sel:DWORD
	v_mul_u32_u24_sdwa v4, v4, v37 dst_sel:DWORD dst_unused:UNUSED_PAD src0_sel:WORD_1 src1_sel:DWORD
	v_pk_fma_f16 v27, v60, v89, v27
	v_pk_fma_f16 v38, v60, v3, v38
	v_pk_fma_f16 v39, v61, v89, v39
	v_pk_fma_f16 v1, v61, v3, v1
	v_mul_u32_u24_sdwa v91, v5, v37 dst_sel:DWORD dst_unused:UNUSED_PAD src0_sel:WORD_0 src1_sel:DWORD
	;; [unrolled: 6-line block ×13, first 2 shown]
	v_mul_u32_u24_sdwa v2, v59, v37 dst_sel:DWORD dst_unused:UNUSED_PAD src0_sel:WORD_1 src1_sel:DWORD
	v_pk_fma_f16 v6, v84, v4, v6
	v_pk_fma_f16 v8, v84, v5, v8
	v_pk_fma_f16 v3, v85, v4, v3
	v_pk_fma_f16 v1, v85, v5, v1
	s_waitcnt lgkmcnt(0)
	s_lshl_b32 s18, s18, 5
	v_pk_fma_f16 v38, v86, v7, v6
	v_pk_fma_f16 v27, v86, v2, v8
	;; [unrolled: 1-line block ×4, first 2 shown]
	s_add_i32 s6, s18, s6
	s_cmp_ge_i32 s6, s30
	s_cbranch_scc1 .LBB23_23
; %bb.22:                               ;   in Loop: Header=BB23_13 Depth=1
	v_mov_b32_e32 v42, v19
	v_mov_b32_e32 v43, v20
	;; [unrolled: 1-line block ×4, first 2 shown]
	s_branch .LBB23_13
.LBB23_23:
	v_mov_b32_e32 v2, v24
.LBB23_24:
	v_cmp_lt_i32_e32 vcc_lo, v48, v25
	s_cmp_lg_u64 s[16:17], 0
	s_cselect_b32 s0, -1, 0
	s_cmp_eq_u32 s28, 0
	v_cndmask_b32_e32 v1, v2, v48, vcc_lo
	v_cmp_lt_i32_e32 vcc_lo, v44, v25
	s_cselect_b32 s1, -1, 0
	s_and_b32 s0, s1, s0
	v_lshlrev_b32_e32 v1, 2, v1
	v_cndmask_b32_e32 v4, v2, v44, vcc_lo
	v_cmp_lt_i32_e32 vcc_lo, v45, v25
	ds_bpermute_b32 v3, v1, v50
	ds_bpermute_b32 v1, v1, v49
	v_lshlrev_b32_e32 v4, 2, v4
	v_cndmask_b32_e32 v6, v2, v45, vcc_lo
	v_cmp_lt_i32_e32 vcc_lo, v46, v25
	v_lshlrev_b32_e32 v6, 2, v6
	s_waitcnt lgkmcnt(1)
	v_add_f32_e32 v3, v50, v3
	s_waitcnt lgkmcnt(0)
	v_add_f32_e32 v1, v49, v1
	ds_bpermute_b32 v5, v4, v3
	ds_bpermute_b32 v4, v4, v1
	s_waitcnt lgkmcnt(1)
	v_add_f32_e32 v3, v3, v5
	s_waitcnt lgkmcnt(0)
	v_add_f32_e32 v1, v1, v4
	ds_bpermute_b32 v4, v6, v3
	ds_bpermute_b32 v5, v6, v1
	v_cndmask_b32_e32 v6, v2, v46, vcc_lo
	v_cmp_lt_i32_e32 vcc_lo, v47, v25
	v_lshlrev_b32_e32 v6, 2, v6
	v_cndmask_b32_e32 v2, v2, v47, vcc_lo
	s_and_b32 vcc_lo, exec_lo, s0
	s_mov_b32 s0, 0
	v_lshlrev_b32_e32 v2, 2, v2
	s_waitcnt lgkmcnt(1)
	v_add_f32_e32 v3, v3, v4
	s_waitcnt lgkmcnt(0)
	v_add_f32_e32 v1, v1, v5
	ds_bpermute_b32 v4, v6, v3
	ds_bpermute_b32 v5, v6, v1
	s_waitcnt lgkmcnt(1)
	v_add_f32_e32 v3, v3, v4
	s_waitcnt lgkmcnt(0)
	v_add_f32_e32 v4, v1, v5
	ds_bpermute_b32 v1, v2, v3
	ds_bpermute_b32 v2, v2, v4
	s_waitcnt lgkmcnt(1)
	v_add_f32_e32 v1, v3, v1
	s_waitcnt lgkmcnt(0)
	v_add_f32_e32 v2, v4, v2
	v_add_nc_u32_e32 v3, s29, v22
	s_cbranch_vccnz .LBB23_27
; %bb.25:
	v_mov_b32_e32 v5, v2
	v_add_nc_u32_e32 v6, s29, v22
	v_mov_b32_e32 v4, v1
	s_andn2_b32 vcc_lo, exec_lo, s0
	s_cbranch_vccz .LBB23_28
; %bb.26:
	v_mov_b32_e32 v3, v6
	s_branch .LBB23_29
.LBB23_27:
                                        ; implicit-def: $vgpr6
                                        ; implicit-def: $vgpr4_vgpr5
.LBB23_28:
	v_ashrrev_i32_e32 v4, 31, v3
	v_max_f32_e32 v6, v19, v19
	v_max_f32_e32 v8, v20, v20
	v_lshlrev_b64 v[4:5], 2, v[3:4]
	v_add_co_u32 v4, vcc_lo, s16, v4
	v_add_co_ci_u32_e64 v5, null, s17, v5, vcc_lo
	global_load_dwordx2 v[4:5], v[4:5], off
	s_waitcnt vmcnt(0)
	v_max_f32_e32 v7, v4, v4
	v_max_f32_e32 v10, v5, v5
	;; [unrolled: 1-line block ×4, first 2 shown]
	v_sub_f32_e32 v8, v19, v6
	v_sub_f32_e32 v10, v20, v7
	;; [unrolled: 1-line block ×4, first 2 shown]
	v_mul_f32_e32 v11, 0x3fb8aa3b, v8
	v_mul_f32_e32 v13, 0x3fb8aa3b, v10
	;; [unrolled: 1-line block ×4, first 2 shown]
	v_cmp_ngt_f32_e32 vcc_lo, 0xc2ce8ed0, v8
	v_fma_f32 v15, 0x3fb8aa3b, v8, -v11
	v_rndne_f32_e32 v16, v11
	v_fma_f32 v19, 0x3fb8aa3b, v10, -v13
	v_rndne_f32_e32 v20, v13
	v_fma_f32 v17, 0x3fb8aa3b, v4, -v12
	v_fmac_f32_e32 v15, 0x32a5705f, v8
	v_sub_f32_e32 v11, v11, v16
	v_rndne_f32_e32 v18, v12
	v_fmac_f32_e32 v19, 0x32a5705f, v10
	v_sub_f32_e32 v13, v13, v20
	v_fmac_f32_e32 v17, 0x32a5705f, v4
	v_add_f32_e32 v11, v11, v15
	v_sub_f32_e32 v12, v12, v18
	v_cvt_i32_f32_e32 v15, v16
	v_add_f32_e32 v13, v13, v19
	v_fma_f32 v22, 0x3fb8aa3b, v5, -v14
	v_exp_f32_e32 v11, v11
	v_add_f32_e32 v12, v12, v17
	v_rndne_f32_e32 v23, v14
	v_exp_f32_e32 v13, v13
	v_cvt_i32_f32_e32 v17, v20
	v_fmac_f32_e32 v22, 0x32a5705f, v5
	v_exp_f32_e32 v12, v12
	v_sub_f32_e32 v14, v14, v23
	v_cvt_i32_f32_e32 v16, v18
	v_cvt_i32_f32_e32 v18, v23
	v_ldexp_f32 v11, v11, v15
	v_mov_b32_e32 v20, v7
	v_add_f32_e32 v14, v14, v22
	v_ldexp_f32 v13, v13, v17
	v_mov_b32_e32 v22, 0x10001
	v_cndmask_b32_e32 v11, 0, v11, vcc_lo
	v_cmp_ngt_f32_e32 vcc_lo, 0xc2ce8ed0, v10
	v_ldexp_f32 v12, v12, v16
	v_exp_f32_e32 v14, v14
	v_mov_b32_e32 v19, v6
	v_cndmask_b32_e32 v13, 0, v13, vcc_lo
	v_cmp_ngt_f32_e32 vcc_lo, 0xc2ce8ed0, v4
	v_cndmask_b32_e32 v12, 0, v12, vcc_lo
	v_cmp_nlt_f32_e32 vcc_lo, 0x42b17218, v8
	v_ldexp_f32 v14, v14, v18
	v_cndmask_b32_e32 v8, 0x7f800000, v11, vcc_lo
	v_cmp_nlt_f32_e32 vcc_lo, 0x42b17218, v10
	v_cndmask_b32_e32 v10, 0x7f800000, v13, vcc_lo
	v_cmp_ngt_f32_e32 vcc_lo, 0xc2ce8ed0, v5
	v_cvt_f16_f32_e32 v13, v10
	v_cndmask_b32_e32 v11, 0, v14, vcc_lo
	v_cmp_nlt_f32_e32 vcc_lo, 0x42b17218, v4
	v_mul_u32_u24_sdwa v6, v13, v22 dst_sel:DWORD dst_unused:UNUSED_PAD src0_sel:WORD_0 src1_sel:DWORD
	v_cndmask_b32_e32 v4, 0x7f800000, v12, vcc_lo
	v_cmp_nlt_f32_e32 vcc_lo, 0x42b17218, v5
	v_cvt_f16_f32_e32 v12, v8
	v_pk_mul_f16 v27, v27, v6
	v_pk_mul_f16 v26, v26, v6
	v_fmac_f32_e32 v4, v1, v8
	v_cndmask_b32_e32 v5, 0x7f800000, v11, vcc_lo
	v_mul_u32_u24_sdwa v8, v12, v22 dst_sel:DWORD dst_unused:UNUSED_PAD src0_sel:WORD_0 src1_sel:DWORD
	v_mov_b32_e32 v1, v4
	v_fmac_f32_e32 v5, v2, v10
	v_pk_mul_f16 v38, v38, v8
	v_pk_mul_f16 v39, v39, v8
	v_mov_b32_e32 v2, v5
.LBB23_29:
	s_load_dword s1, s[4:5], 0xd4
	v_mov_b32_e32 v8, 1.0
	s_waitcnt lgkmcnt(0)
	s_cmp_lg_u32 s1, 1
	s_cselect_b32 s5, -1, 0
	s_cmp_eq_u32 s1, 1
	s_cselect_b32 s4, -1, 0
	s_and_b32 vcc_lo, exec_lo, s5
	s_cbranch_vccnz .LBB23_31
; %bb.30:
	v_div_scale_f32 v6, null, v1, v1, 1.0
	v_rcp_f32_e32 v7, v6
	v_fma_f32 v8, -v6, v7, 1.0
	v_fmac_f32_e32 v7, v8, v7
	v_div_scale_f32 v8, vcc_lo, 1.0, v1, 1.0
	v_mul_f32_e32 v10, v8, v7
	v_fma_f32 v11, -v6, v10, v8
	v_fmac_f32_e32 v10, v11, v7
	v_fma_f32 v6, -v6, v10, v8
	v_div_fmas_f32 v6, v6, v7, v10
	v_div_fixup_f32 v8, v6, v1, 1.0
.LBB23_31:
	v_mad_u64_u32 v[6:7], null, s7, s2, v[9:10]
	v_cmp_eq_u32_e32 vcc_lo, 0, v0
	v_mov_b32_e32 v1, 0
	v_cvt_f32_f16_e32 v11, v39
	v_cvt_f32_f16_sdwa v12, v39 dst_sel:DWORD dst_unused:UNUSED_PAD src0_sel:WORD_1
	v_mad_u64_u32 v[6:7], null, v6, s3, v[3:4]
	v_cvt_f32_f16_e32 v3, v38
	v_mul_f32_e32 v11, v8, v11
	v_mul_f32_e32 v12, v8, v12
	;; [unrolled: 1-line block ×3, first 2 shown]
	v_mad_u64_u32 v[6:7], null, s1, v6, s[28:29]
	v_cvt_f32_f16_sdwa v7, v38 dst_sel:DWORD dst_unused:UNUSED_PAD src0_sel:WORD_1
	v_mul_f32_e32 v10, v8, v7
	v_lshl_add_u32 v0, v6, 7, v21
	v_lshlrev_b64 v[0:1], 2, v[0:1]
	v_add_co_u32 v0, s0, s20, v0
	v_add_co_ci_u32_e64 v1, null, s21, v1, s0
	s_and_b32 s0, vcc_lo, s5
	global_store_dwordx4 v[0:1], v[9:12], off
	s_and_saveexec_b32 s2, s0
	s_cbranch_execz .LBB23_33
; %bb.32:
	v_ashrrev_i32_e32 v7, 31, v6
	v_mov_b32_e32 v3, v19
	v_lshlrev_b64 v[0:1], 3, v[6:7]
	v_add_co_u32 v0, vcc_lo, s22, v0
	v_add_co_ci_u32_e64 v1, null, s23, v1, vcc_lo
	global_store_dwordx2 v[0:1], v[3:4], off
.LBB23_33:
	s_or_b32 exec_lo, exec_lo, s2
	v_mov_b32_e32 v1, 1.0
	s_andn2_b32 vcc_lo, exec_lo, s4
	s_cbranch_vccnz .LBB23_35
; %bb.34:
	v_div_scale_f32 v0, null, v2, v2, 1.0
	v_rcp_f32_e32 v1, v0
	v_fma_f32 v3, -v0, v1, 1.0
	v_fmac_f32_e32 v1, v3, v1
	v_div_scale_f32 v3, vcc_lo, 1.0, v2, 1.0
	v_mul_f32_e32 v4, v3, v1
	v_fma_f32 v7, -v0, v4, v3
	v_fmac_f32_e32 v4, v7, v1
	v_fma_f32 v0, -v0, v4, v3
	v_div_fmas_f32 v0, v0, v1, v4
	v_div_fixup_f32 v1, v0, v2, 1.0
.LBB23_35:
	v_add_nc_u32_e32 v0, s1, v6
	v_mov_b32_e32 v3, 0
	v_cvt_f32_f16_e32 v4, v27
	v_cvt_f32_f16_sdwa v7, v27 dst_sel:DWORD dst_unused:UNUSED_PAD src0_sel:WORD_1
	v_cvt_f32_f16_e32 v8, v26
	v_lshl_add_u32 v2, v0, 7, v21
	v_cvt_f32_f16_sdwa v9, v26 dst_sel:DWORD dst_unused:UNUSED_PAD src0_sel:WORD_1
	v_mul_f32_e32 v6, v1, v4
	v_mul_f32_e32 v7, v1, v7
	;; [unrolled: 1-line block ×3, first 2 shown]
	v_lshlrev_b64 v[2:3], 2, v[2:3]
	v_mul_f32_e32 v9, v1, v9
	v_add_co_u32 v1, vcc_lo, s20, v2
	v_add_co_ci_u32_e64 v2, null, s21, v3, vcc_lo
	global_store_dwordx4 v[1:2], v[6:9], off
	s_and_saveexec_b32 s1, s0
	s_cbranch_execz .LBB23_37
; %bb.36:
	v_ashrrev_i32_e32 v1, 31, v0
	v_mov_b32_e32 v4, v20
	v_lshlrev_b64 v[0:1], 3, v[0:1]
	v_add_co_u32 v0, vcc_lo, s22, v0
	v_add_co_ci_u32_e64 v1, null, s23, v1, vcc_lo
	global_store_dwordx2 v[0:1], v[4:5], off
.LBB23_37:
	s_endpgm
	.section	.rodata,"a",@progbits
	.p2align	6, 0x0
	.amdhsa_kernel _ZL15flash_attn_tileILi192ELi128ELi1ELi8ELb1EEvPKcS1_S1_S1_S1_PKiPfP15HIP_vector_typeIfLj2EEffffjfiS5_IjLj3EEiiiiiiiiiiiliiliiiiil
		.amdhsa_group_segment_fixed_size 8192
		.amdhsa_private_segment_fixed_size 0
		.amdhsa_kernarg_size 464
		.amdhsa_user_sgpr_count 6
		.amdhsa_user_sgpr_private_segment_buffer 1
		.amdhsa_user_sgpr_dispatch_ptr 0
		.amdhsa_user_sgpr_queue_ptr 0
		.amdhsa_user_sgpr_kernarg_segment_ptr 1
		.amdhsa_user_sgpr_dispatch_id 0
		.amdhsa_user_sgpr_flat_scratch_init 0
		.amdhsa_user_sgpr_private_segment_size 0
		.amdhsa_wavefront_size32 1
		.amdhsa_uses_dynamic_stack 0
		.amdhsa_system_sgpr_private_segment_wavefront_offset 0
		.amdhsa_system_sgpr_workgroup_id_x 1
		.amdhsa_system_sgpr_workgroup_id_y 1
		.amdhsa_system_sgpr_workgroup_id_z 1
		.amdhsa_system_sgpr_workgroup_info 0
		.amdhsa_system_vgpr_workitem_id 1
		.amdhsa_next_free_vgpr 108
		.amdhsa_next_free_sgpr 40
		.amdhsa_reserve_vcc 1
		.amdhsa_reserve_flat_scratch 0
		.amdhsa_float_round_mode_32 0
		.amdhsa_float_round_mode_16_64 0
		.amdhsa_float_denorm_mode_32 3
		.amdhsa_float_denorm_mode_16_64 3
		.amdhsa_dx10_clamp 1
		.amdhsa_ieee_mode 1
		.amdhsa_fp16_overflow 0
		.amdhsa_workgroup_processor_mode 1
		.amdhsa_memory_ordered 1
		.amdhsa_forward_progress 1
		.amdhsa_shared_vgpr_count 0
		.amdhsa_exception_fp_ieee_invalid_op 0
		.amdhsa_exception_fp_denorm_src 0
		.amdhsa_exception_fp_ieee_div_zero 0
		.amdhsa_exception_fp_ieee_overflow 0
		.amdhsa_exception_fp_ieee_underflow 0
		.amdhsa_exception_fp_ieee_inexact 0
		.amdhsa_exception_int_div_zero 0
	.end_amdhsa_kernel
	.section	.text._ZL15flash_attn_tileILi192ELi128ELi1ELi8ELb1EEvPKcS1_S1_S1_S1_PKiPfP15HIP_vector_typeIfLj2EEffffjfiS5_IjLj3EEiiiiiiiiiiiliiliiiiil,"axG",@progbits,_ZL15flash_attn_tileILi192ELi128ELi1ELi8ELb1EEvPKcS1_S1_S1_S1_PKiPfP15HIP_vector_typeIfLj2EEffffjfiS5_IjLj3EEiiiiiiiiiiiliiliiiiil,comdat
.Lfunc_end23:
	.size	_ZL15flash_attn_tileILi192ELi128ELi1ELi8ELb1EEvPKcS1_S1_S1_S1_PKiPfP15HIP_vector_typeIfLj2EEffffjfiS5_IjLj3EEiiiiiiiiiiiliiliiiiil, .Lfunc_end23-_ZL15flash_attn_tileILi192ELi128ELi1ELi8ELb1EEvPKcS1_S1_S1_S1_PKiPfP15HIP_vector_typeIfLj2EEffffjfiS5_IjLj3EEiiiiiiiiiiiliiliiiiil
                                        ; -- End function
	.set _ZL15flash_attn_tileILi192ELi128ELi1ELi8ELb1EEvPKcS1_S1_S1_S1_PKiPfP15HIP_vector_typeIfLj2EEffffjfiS5_IjLj3EEiiiiiiiiiiiliiliiiiil.num_vgpr, 108
	.set _ZL15flash_attn_tileILi192ELi128ELi1ELi8ELb1EEvPKcS1_S1_S1_S1_PKiPfP15HIP_vector_typeIfLj2EEffffjfiS5_IjLj3EEiiiiiiiiiiiliiliiiiil.num_agpr, 0
	.set _ZL15flash_attn_tileILi192ELi128ELi1ELi8ELb1EEvPKcS1_S1_S1_S1_PKiPfP15HIP_vector_typeIfLj2EEffffjfiS5_IjLj3EEiiiiiiiiiiiliiliiiiil.numbered_sgpr, 40
	.set _ZL15flash_attn_tileILi192ELi128ELi1ELi8ELb1EEvPKcS1_S1_S1_S1_PKiPfP15HIP_vector_typeIfLj2EEffffjfiS5_IjLj3EEiiiiiiiiiiiliiliiiiil.num_named_barrier, 0
	.set _ZL15flash_attn_tileILi192ELi128ELi1ELi8ELb1EEvPKcS1_S1_S1_S1_PKiPfP15HIP_vector_typeIfLj2EEffffjfiS5_IjLj3EEiiiiiiiiiiiliiliiiiil.private_seg_size, 0
	.set _ZL15flash_attn_tileILi192ELi128ELi1ELi8ELb1EEvPKcS1_S1_S1_S1_PKiPfP15HIP_vector_typeIfLj2EEffffjfiS5_IjLj3EEiiiiiiiiiiiliiliiiiil.uses_vcc, 1
	.set _ZL15flash_attn_tileILi192ELi128ELi1ELi8ELb1EEvPKcS1_S1_S1_S1_PKiPfP15HIP_vector_typeIfLj2EEffffjfiS5_IjLj3EEiiiiiiiiiiiliiliiiiil.uses_flat_scratch, 0
	.set _ZL15flash_attn_tileILi192ELi128ELi1ELi8ELb1EEvPKcS1_S1_S1_S1_PKiPfP15HIP_vector_typeIfLj2EEffffjfiS5_IjLj3EEiiiiiiiiiiiliiliiiiil.has_dyn_sized_stack, 0
	.set _ZL15flash_attn_tileILi192ELi128ELi1ELi8ELb1EEvPKcS1_S1_S1_S1_PKiPfP15HIP_vector_typeIfLj2EEffffjfiS5_IjLj3EEiiiiiiiiiiiliiliiiiil.has_recursion, 0
	.set _ZL15flash_attn_tileILi192ELi128ELi1ELi8ELb1EEvPKcS1_S1_S1_S1_PKiPfP15HIP_vector_typeIfLj2EEffffjfiS5_IjLj3EEiiiiiiiiiiiliiliiiiil.has_indirect_call, 0
	.section	.AMDGPU.csdata,"",@progbits
; Kernel info:
; codeLenInByte = 11448
; TotalNumSgprs: 42
; NumVgprs: 108
; ScratchSize: 0
; MemoryBound: 0
; FloatMode: 240
; IeeeMode: 1
; LDSByteSize: 8192 bytes/workgroup (compile time only)
; SGPRBlocks: 0
; VGPRBlocks: 13
; NumSGPRsForWavesPerEU: 42
; NumVGPRsForWavesPerEU: 108
; Occupancy: 9
; WaveLimiterHint : 1
; COMPUTE_PGM_RSRC2:SCRATCH_EN: 0
; COMPUTE_PGM_RSRC2:USER_SGPR: 6
; COMPUTE_PGM_RSRC2:TRAP_HANDLER: 0
; COMPUTE_PGM_RSRC2:TGID_X_EN: 1
; COMPUTE_PGM_RSRC2:TGID_Y_EN: 1
; COMPUTE_PGM_RSRC2:TGID_Z_EN: 1
; COMPUTE_PGM_RSRC2:TIDIG_COMP_CNT: 1
	.section	.AMDGPU.gpr_maximums,"",@progbits
	.set amdgpu.max_num_vgpr, 0
	.set amdgpu.max_num_agpr, 0
	.set amdgpu.max_num_sgpr, 0
	.section	.AMDGPU.csdata,"",@progbits
	.type	__hip_cuid_ecc76cbfc5f70f2f,@object ; @__hip_cuid_ecc76cbfc5f70f2f
	.section	.bss,"aw",@nobits
	.globl	__hip_cuid_ecc76cbfc5f70f2f
__hip_cuid_ecc76cbfc5f70f2f:
	.byte	0                               ; 0x0
	.size	__hip_cuid_ecc76cbfc5f70f2f, 1

	.ident	"AMD clang version 22.0.0git (https://github.com/RadeonOpenCompute/llvm-project roc-7.2.4 26084 f58b06dce1f9c15707c5f808fd002e18c2accf7e)"
	.section	".note.GNU-stack","",@progbits
	.addrsig
	.addrsig_sym __hip_cuid_ecc76cbfc5f70f2f
	.amdgpu_metadata
---
amdhsa.kernels:
  - .args:
      - .address_space:  global
        .offset:         0
        .size:           8
        .value_kind:     global_buffer
      - .address_space:  global
        .offset:         8
        .size:           8
        .value_kind:     global_buffer
      - .address_space:  global
        .offset:         16
        .size:           8
        .value_kind:     global_buffer
      - .address_space:  global
        .offset:         24
        .size:           8
        .value_kind:     global_buffer
      - .address_space:  global
        .offset:         32
        .size:           8
        .value_kind:     global_buffer
      - .address_space:  global
        .offset:         40
        .size:           8
        .value_kind:     global_buffer
      - .address_space:  global
        .offset:         48
        .size:           8
        .value_kind:     global_buffer
      - .address_space:  global
        .offset:         56
        .size:           8
        .value_kind:     global_buffer
      - .offset:         64
        .size:           4
        .value_kind:     by_value
      - .offset:         68
        .size:           4
        .value_kind:     by_value
      - .offset:         72
        .size:           4
        .value_kind:     by_value
      - .offset:         76
        .size:           4
        .value_kind:     by_value
      - .offset:         80
        .size:           4
        .value_kind:     by_value
      - .offset:         84
        .size:           4
        .value_kind:     by_value
      - .offset:         88
        .size:           4
        .value_kind:     by_value
      - .offset:         92
        .size:           12
        .value_kind:     by_value
      - .offset:         104
        .size:           4
        .value_kind:     by_value
      - .offset:         108
        .size:           4
        .value_kind:     by_value
      - .offset:         112
        .size:           4
        .value_kind:     by_value
      - .offset:         116
        .size:           4
        .value_kind:     by_value
      - .offset:         120
        .size:           4
        .value_kind:     by_value
      - .offset:         124
        .size:           4
        .value_kind:     by_value
      - .offset:         128
        .size:           4
        .value_kind:     by_value
      - .offset:         132
        .size:           4
        .value_kind:     by_value
      - .offset:         136
        .size:           4
        .value_kind:     by_value
      - .offset:         140
        .size:           4
        .value_kind:     by_value
      - .offset:         144
        .size:           4
        .value_kind:     by_value
      - .offset:         152
        .size:           8
        .value_kind:     by_value
      - .offset:         160
        .size:           4
        .value_kind:     by_value
      - .offset:         164
        .size:           4
        .value_kind:     by_value
      - .offset:         168
        .size:           8
        .value_kind:     by_value
      - .offset:         176
        .size:           4
        .value_kind:     by_value
      - .offset:         180
        .size:           4
        .value_kind:     by_value
      - .offset:         184
        .size:           4
        .value_kind:     by_value
      - .offset:         188
        .size:           4
        .value_kind:     by_value
      - .offset:         192
        .size:           4
        .value_kind:     by_value
      - .offset:         200
        .size:           8
        .value_kind:     by_value
      - .offset:         208
        .size:           4
        .value_kind:     hidden_block_count_x
      - .offset:         212
        .size:           4
        .value_kind:     hidden_block_count_y
      - .offset:         216
        .size:           4
        .value_kind:     hidden_block_count_z
      - .offset:         220
        .size:           2
        .value_kind:     hidden_group_size_x
      - .offset:         222
        .size:           2
        .value_kind:     hidden_group_size_y
      - .offset:         224
        .size:           2
        .value_kind:     hidden_group_size_z
      - .offset:         226
        .size:           2
        .value_kind:     hidden_remainder_x
      - .offset:         228
        .size:           2
        .value_kind:     hidden_remainder_y
      - .offset:         230
        .size:           2
        .value_kind:     hidden_remainder_z
      - .offset:         248
        .size:           8
        .value_kind:     hidden_global_offset_x
      - .offset:         256
        .size:           8
        .value_kind:     hidden_global_offset_y
      - .offset:         264
        .size:           8
        .value_kind:     hidden_global_offset_z
      - .offset:         272
        .size:           2
        .value_kind:     hidden_grid_dims
    .group_segment_fixed_size: 25600
    .kernarg_segment_align: 8
    .kernarg_segment_size: 464
    .language:       OpenCL C
    .language_version:
      - 2
      - 0
    .max_flat_workgroup_size: 256
    .name:           _ZL15flash_attn_tileILi192ELi128ELi2ELi16ELb0EEvPKcS1_S1_S1_S1_PKiPfP15HIP_vector_typeIfLj2EEffffjfiS5_IjLj3EEiiiiiiiiiiiliiliiiiil
    .private_segment_fixed_size: 0
    .sgpr_count:     42
    .sgpr_spill_count: 0
    .symbol:         _ZL15flash_attn_tileILi192ELi128ELi2ELi16ELb0EEvPKcS1_S1_S1_S1_PKiPfP15HIP_vector_typeIfLj2EEffffjfiS5_IjLj3EEiiiiiiiiiiiliiliiiiil.kd
    .uniform_work_group_size: 1
    .uses_dynamic_stack: false
    .vgpr_count:     139
    .vgpr_spill_count: 0
    .wavefront_size: 32
    .workgroup_processor_mode: 1
  - .args:
      - .actual_access:  read_only
        .address_space:  global
        .offset:         0
        .size:           8
        .value_kind:     global_buffer
      - .actual_access:  write_only
        .address_space:  global
        .offset:         8
        .size:           8
        .value_kind:     global_buffer
      - .offset:         16
        .size:           4
        .value_kind:     by_value
      - .offset:         20
        .size:           4
        .value_kind:     by_value
      - .offset:         24
        .size:           4
        .value_kind:     by_value
      - .offset:         32
        .size:           4
        .value_kind:     hidden_block_count_x
      - .offset:         36
        .size:           4
        .value_kind:     hidden_block_count_y
      - .offset:         40
        .size:           4
        .value_kind:     hidden_block_count_z
      - .offset:         44
        .size:           2
        .value_kind:     hidden_group_size_x
      - .offset:         46
        .size:           2
        .value_kind:     hidden_group_size_y
      - .offset:         48
        .size:           2
        .value_kind:     hidden_group_size_z
      - .offset:         50
        .size:           2
        .value_kind:     hidden_remainder_x
      - .offset:         52
        .size:           2
        .value_kind:     hidden_remainder_y
      - .offset:         54
        .size:           2
        .value_kind:     hidden_remainder_z
      - .offset:         72
        .size:           8
        .value_kind:     hidden_global_offset_x
      - .offset:         80
        .size:           8
        .value_kind:     hidden_global_offset_y
      - .offset:         88
        .size:           8
        .value_kind:     hidden_global_offset_z
      - .offset:         96
        .size:           2
        .value_kind:     hidden_grid_dims
    .group_segment_fixed_size: 128
    .kernarg_segment_align: 8
    .kernarg_segment_size: 288
    .language:       OpenCL C
    .language_version:
      - 2
      - 0
    .max_flat_workgroup_size: 128
    .name:           _ZL25flash_attn_mask_to_KV_maxILi2EEvPK7__half2Piiii
    .private_segment_fixed_size: 0
    .sgpr_count:     18
    .sgpr_spill_count: 0
    .symbol:         _ZL25flash_attn_mask_to_KV_maxILi2EEvPK7__half2Piiii.kd
    .uniform_work_group_size: 1
    .uses_dynamic_stack: false
    .vgpr_count:     8
    .vgpr_spill_count: 0
    .wavefront_size: 32
    .workgroup_processor_mode: 1
  - .args:
      - .address_space:  global
        .offset:         0
        .size:           8
        .value_kind:     global_buffer
      - .address_space:  global
        .offset:         8
        .size:           8
        .value_kind:     global_buffer
      - .offset:         16
        .size:           4
        .value_kind:     by_value
      - .offset:         20
        .size:           4
        .value_kind:     by_value
      - .offset:         24
        .size:           4
        .value_kind:     by_value
      - .offset:         28
        .size:           4
        .value_kind:     by_value
      - .offset:         32
        .size:           4
        .value_kind:     by_value
      - .offset:         36
        .size:           4
        .value_kind:     by_value
      - .offset:         40
        .size:           12
        .value_kind:     by_value
      - .offset:         52
        .size:           12
        .value_kind:     by_value
      - .offset:         64
        .size:           12
        .value_kind:     by_value
    .group_segment_fixed_size: 0
    .kernarg_segment_align: 8
    .kernarg_segment_size: 76
    .language:       OpenCL C
    .language_version:
      - 2
      - 0
    .max_flat_workgroup_size: 128
    .name:           _ZL33flash_attn_stream_k_fixup_uniformILi128ELi2ELi16EEvPfPK15HIP_vector_typeIfLj2EEiiiiiiS1_IjLj3EES5_S5_
    .private_segment_fixed_size: 0
    .sgpr_count:     26
    .sgpr_spill_count: 0
    .symbol:         _ZL33flash_attn_stream_k_fixup_uniformILi128ELi2ELi16EEvPfPK15HIP_vector_typeIfLj2EEiiiiiiS1_IjLj3EES5_S5_.kd
    .uniform_work_group_size: 1
    .uses_dynamic_stack: false
    .vgpr_count:     15
    .vgpr_spill_count: 0
    .wavefront_size: 32
    .workgroup_processor_mode: 1
  - .args:
      - .address_space:  global
        .offset:         0
        .size:           8
        .value_kind:     global_buffer
      - .address_space:  global
        .offset:         8
        .size:           8
        .value_kind:     global_buffer
      - .offset:         16
        .size:           4
        .value_kind:     by_value
      - .offset:         20
        .size:           4
        .value_kind:     by_value
      - .offset:         24
        .size:           4
        .value_kind:     by_value
      - .offset:         28
        .size:           4
        .value_kind:     by_value
      - .offset:         32
        .size:           12
        .value_kind:     by_value
      - .offset:         44
        .size:           12
        .value_kind:     by_value
      - .offset:         56
        .size:           12
        .value_kind:     by_value
      - .offset:         68
        .size:           12
        .value_kind:     by_value
      - .offset:         80
        .size:           4
        .value_kind:     hidden_block_count_x
      - .offset:         84
        .size:           4
        .value_kind:     hidden_block_count_y
      - .offset:         88
        .size:           4
        .value_kind:     hidden_block_count_z
      - .offset:         92
        .size:           2
        .value_kind:     hidden_group_size_x
      - .offset:         94
        .size:           2
        .value_kind:     hidden_group_size_y
      - .offset:         96
        .size:           2
        .value_kind:     hidden_group_size_z
      - .offset:         98
        .size:           2
        .value_kind:     hidden_remainder_x
      - .offset:         100
        .size:           2
        .value_kind:     hidden_remainder_y
      - .offset:         102
        .size:           2
        .value_kind:     hidden_remainder_z
      - .offset:         120
        .size:           8
        .value_kind:     hidden_global_offset_x
      - .offset:         128
        .size:           8
        .value_kind:     hidden_global_offset_y
      - .offset:         136
        .size:           8
        .value_kind:     hidden_global_offset_z
      - .offset:         144
        .size:           2
        .value_kind:     hidden_grid_dims
    .group_segment_fixed_size: 0
    .kernarg_segment_align: 8
    .kernarg_segment_size: 336
    .language:       OpenCL C
    .language_version:
      - 2
      - 0
    .max_flat_workgroup_size: 128
    .name:           _ZL33flash_attn_stream_k_fixup_generalILi128ELi2ELi16EEvPfPK15HIP_vector_typeIfLj2EEiiiiS1_IjLj3EES5_S5_S5_
    .private_segment_fixed_size: 0
    .sgpr_count:     33
    .sgpr_spill_count: 0
    .symbol:         _ZL33flash_attn_stream_k_fixup_generalILi128ELi2ELi16EEvPfPK15HIP_vector_typeIfLj2EEiiiiS1_IjLj3EES5_S5_S5_.kd
    .uniform_work_group_size: 1
    .uses_dynamic_stack: false
    .vgpr_count:     17
    .vgpr_spill_count: 0
    .wavefront_size: 32
    .workgroup_processor_mode: 1
  - .args:
      - .address_space:  global
        .offset:         0
        .size:           8
        .value_kind:     global_buffer
      - .address_space:  global
        .offset:         8
        .size:           8
        .value_kind:     global_buffer
      - .address_space:  global
        .offset:         16
        .size:           8
        .value_kind:     global_buffer
      - .offset:         24
        .size:           4
        .value_kind:     by_value
      - .offset:         32
        .size:           4
        .value_kind:     hidden_block_count_x
      - .offset:         36
        .size:           4
        .value_kind:     hidden_block_count_y
      - .offset:         40
        .size:           4
        .value_kind:     hidden_block_count_z
      - .offset:         44
        .size:           2
        .value_kind:     hidden_group_size_x
      - .offset:         46
        .size:           2
        .value_kind:     hidden_group_size_y
      - .offset:         48
        .size:           2
        .value_kind:     hidden_group_size_z
      - .offset:         50
        .size:           2
        .value_kind:     hidden_remainder_x
      - .offset:         52
        .size:           2
        .value_kind:     hidden_remainder_y
      - .offset:         54
        .size:           2
        .value_kind:     hidden_remainder_z
      - .offset:         72
        .size:           8
        .value_kind:     hidden_global_offset_x
      - .offset:         80
        .size:           8
        .value_kind:     hidden_global_offset_y
      - .offset:         88
        .size:           8
        .value_kind:     hidden_global_offset_z
      - .offset:         96
        .size:           2
        .value_kind:     hidden_grid_dims
      - .offset:         152
        .size:           4
        .value_kind:     hidden_dynamic_lds_size
    .group_segment_fixed_size: 0
    .kernarg_segment_align: 8
    .kernarg_segment_size: 288
    .language:       OpenCL C
    .language_version:
      - 2
      - 0
    .max_flat_workgroup_size: 128
    .name:           _ZL26flash_attn_combine_resultsILi128EEvPKfPK15HIP_vector_typeIfLj2EEPfi
    .private_segment_fixed_size: 0
    .sgpr_count:     20
    .sgpr_spill_count: 0
    .symbol:         _ZL26flash_attn_combine_resultsILi128EEvPKfPK15HIP_vector_typeIfLj2EEPfi.kd
    .uniform_work_group_size: 1
    .uses_dynamic_stack: false
    .vgpr_count:     52
    .vgpr_spill_count: 0
    .wavefront_size: 32
    .workgroup_processor_mode: 1
  - .args:
      - .address_space:  global
        .offset:         0
        .size:           8
        .value_kind:     global_buffer
      - .address_space:  global
        .offset:         8
        .size:           8
        .value_kind:     global_buffer
      - .address_space:  global
        .offset:         16
        .size:           8
        .value_kind:     global_buffer
      - .address_space:  global
        .offset:         24
        .size:           8
        .value_kind:     global_buffer
      - .address_space:  global
        .offset:         32
        .size:           8
        .value_kind:     global_buffer
      - .address_space:  global
        .offset:         40
        .size:           8
        .value_kind:     global_buffer
      - .address_space:  global
        .offset:         48
        .size:           8
        .value_kind:     global_buffer
      - .address_space:  global
        .offset:         56
        .size:           8
        .value_kind:     global_buffer
      - .offset:         64
        .size:           4
        .value_kind:     by_value
      - .offset:         68
        .size:           4
        .value_kind:     by_value
      - .offset:         72
        .size:           4
        .value_kind:     by_value
      - .offset:         76
        .size:           4
        .value_kind:     by_value
      - .offset:         80
        .size:           4
        .value_kind:     by_value
      - .offset:         84
        .size:           4
        .value_kind:     by_value
      - .offset:         88
        .size:           4
        .value_kind:     by_value
      - .offset:         92
        .size:           12
        .value_kind:     by_value
      - .offset:         104
        .size:           4
        .value_kind:     by_value
      - .offset:         108
        .size:           4
        .value_kind:     by_value
      - .offset:         112
        .size:           4
        .value_kind:     by_value
      - .offset:         116
        .size:           4
        .value_kind:     by_value
      - .offset:         120
        .size:           4
        .value_kind:     by_value
      - .offset:         124
        .size:           4
        .value_kind:     by_value
      - .offset:         128
        .size:           4
        .value_kind:     by_value
      - .offset:         132
        .size:           4
        .value_kind:     by_value
      - .offset:         136
        .size:           4
        .value_kind:     by_value
      - .offset:         140
        .size:           4
        .value_kind:     by_value
      - .offset:         144
        .size:           4
        .value_kind:     by_value
      - .offset:         152
        .size:           8
        .value_kind:     by_value
      - .offset:         160
        .size:           4
        .value_kind:     by_value
      - .offset:         164
        .size:           4
        .value_kind:     by_value
      - .offset:         168
        .size:           8
        .value_kind:     by_value
      - .offset:         176
        .size:           4
        .value_kind:     by_value
      - .offset:         180
        .size:           4
        .value_kind:     by_value
      - .offset:         184
        .size:           4
        .value_kind:     by_value
      - .offset:         188
        .size:           4
        .value_kind:     by_value
      - .offset:         192
        .size:           4
        .value_kind:     by_value
      - .offset:         200
        .size:           8
        .value_kind:     by_value
      - .offset:         208
        .size:           4
        .value_kind:     hidden_block_count_x
      - .offset:         212
        .size:           4
        .value_kind:     hidden_block_count_y
      - .offset:         216
        .size:           4
        .value_kind:     hidden_block_count_z
      - .offset:         220
        .size:           2
        .value_kind:     hidden_group_size_x
      - .offset:         222
        .size:           2
        .value_kind:     hidden_group_size_y
      - .offset:         224
        .size:           2
        .value_kind:     hidden_group_size_z
      - .offset:         226
        .size:           2
        .value_kind:     hidden_remainder_x
      - .offset:         228
        .size:           2
        .value_kind:     hidden_remainder_y
      - .offset:         230
        .size:           2
        .value_kind:     hidden_remainder_z
      - .offset:         248
        .size:           8
        .value_kind:     hidden_global_offset_x
      - .offset:         256
        .size:           8
        .value_kind:     hidden_global_offset_y
      - .offset:         264
        .size:           8
        .value_kind:     hidden_global_offset_z
      - .offset:         272
        .size:           2
        .value_kind:     hidden_grid_dims
    .group_segment_fixed_size: 11776
    .kernarg_segment_align: 8
    .kernarg_segment_size: 464
    .language:       OpenCL C
    .language_version:
      - 2
      - 0
    .max_flat_workgroup_size: 256
    .name:           _ZL15flash_attn_tileILi192ELi128ELi1ELi16ELb0EEvPKcS1_S1_S1_S1_PKiPfP15HIP_vector_typeIfLj2EEffffjfiS5_IjLj3EEiiiiiiiiiiiliiliiiiil
    .private_segment_fixed_size: 0
    .sgpr_count:     42
    .sgpr_spill_count: 0
    .symbol:         _ZL15flash_attn_tileILi192ELi128ELi1ELi16ELb0EEvPKcS1_S1_S1_S1_PKiPfP15HIP_vector_typeIfLj2EEffffjfiS5_IjLj3EEiiiiiiiiiiiliiliiiiil.kd
    .uniform_work_group_size: 1
    .uses_dynamic_stack: false
    .vgpr_count:     72
    .vgpr_spill_count: 0
    .wavefront_size: 32
    .workgroup_processor_mode: 1
  - .args:
      - .actual_access:  read_only
        .address_space:  global
        .offset:         0
        .size:           8
        .value_kind:     global_buffer
      - .actual_access:  write_only
        .address_space:  global
        .offset:         8
        .size:           8
        .value_kind:     global_buffer
      - .offset:         16
        .size:           4
        .value_kind:     by_value
      - .offset:         20
        .size:           4
        .value_kind:     by_value
      - .offset:         24
        .size:           4
        .value_kind:     by_value
      - .offset:         32
        .size:           4
        .value_kind:     hidden_block_count_x
      - .offset:         36
        .size:           4
        .value_kind:     hidden_block_count_y
      - .offset:         40
        .size:           4
        .value_kind:     hidden_block_count_z
      - .offset:         44
        .size:           2
        .value_kind:     hidden_group_size_x
      - .offset:         46
        .size:           2
        .value_kind:     hidden_group_size_y
      - .offset:         48
        .size:           2
        .value_kind:     hidden_group_size_z
      - .offset:         50
        .size:           2
        .value_kind:     hidden_remainder_x
      - .offset:         52
        .size:           2
        .value_kind:     hidden_remainder_y
      - .offset:         54
        .size:           2
        .value_kind:     hidden_remainder_z
      - .offset:         72
        .size:           8
        .value_kind:     hidden_global_offset_x
      - .offset:         80
        .size:           8
        .value_kind:     hidden_global_offset_y
      - .offset:         88
        .size:           8
        .value_kind:     hidden_global_offset_z
      - .offset:         96
        .size:           2
        .value_kind:     hidden_grid_dims
    .group_segment_fixed_size: 128
    .kernarg_segment_align: 8
    .kernarg_segment_size: 288
    .language:       OpenCL C
    .language_version:
      - 2
      - 0
    .max_flat_workgroup_size: 128
    .name:           _ZL25flash_attn_mask_to_KV_maxILi1EEvPK7__half2Piiii
    .private_segment_fixed_size: 0
    .sgpr_count:     18
    .sgpr_spill_count: 0
    .symbol:         _ZL25flash_attn_mask_to_KV_maxILi1EEvPK7__half2Piiii.kd
    .uniform_work_group_size: 1
    .uses_dynamic_stack: false
    .vgpr_count:     8
    .vgpr_spill_count: 0
    .wavefront_size: 32
    .workgroup_processor_mode: 1
  - .args:
      - .address_space:  global
        .offset:         0
        .size:           8
        .value_kind:     global_buffer
      - .address_space:  global
        .offset:         8
        .size:           8
        .value_kind:     global_buffer
      - .offset:         16
        .size:           4
        .value_kind:     by_value
      - .offset:         20
        .size:           4
        .value_kind:     by_value
      - .offset:         24
        .size:           4
        .value_kind:     by_value
      - .offset:         28
        .size:           4
        .value_kind:     by_value
      - .offset:         32
        .size:           4
        .value_kind:     by_value
      - .offset:         36
        .size:           4
        .value_kind:     by_value
      - .offset:         40
        .size:           12
        .value_kind:     by_value
      - .offset:         52
        .size:           12
        .value_kind:     by_value
      - .offset:         64
        .size:           12
        .value_kind:     by_value
    .group_segment_fixed_size: 0
    .kernarg_segment_align: 8
    .kernarg_segment_size: 76
    .language:       OpenCL C
    .language_version:
      - 2
      - 0
    .max_flat_workgroup_size: 128
    .name:           _ZL33flash_attn_stream_k_fixup_uniformILi128ELi1ELi16EEvPfPK15HIP_vector_typeIfLj2EEiiiiiiS1_IjLj3EES5_S5_
    .private_segment_fixed_size: 0
    .sgpr_count:     22
    .sgpr_spill_count: 0
    .symbol:         _ZL33flash_attn_stream_k_fixup_uniformILi128ELi1ELi16EEvPfPK15HIP_vector_typeIfLj2EEiiiiiiS1_IjLj3EES5_S5_.kd
    .uniform_work_group_size: 1
    .uses_dynamic_stack: false
    .vgpr_count:     15
    .vgpr_spill_count: 0
    .wavefront_size: 32
    .workgroup_processor_mode: 1
  - .args:
      - .address_space:  global
        .offset:         0
        .size:           8
        .value_kind:     global_buffer
      - .address_space:  global
        .offset:         8
        .size:           8
        .value_kind:     global_buffer
      - .offset:         16
        .size:           4
        .value_kind:     by_value
      - .offset:         20
        .size:           4
        .value_kind:     by_value
      - .offset:         24
        .size:           4
        .value_kind:     by_value
      - .offset:         28
        .size:           4
        .value_kind:     by_value
      - .offset:         32
        .size:           12
        .value_kind:     by_value
      - .offset:         44
        .size:           12
        .value_kind:     by_value
      - .offset:         56
        .size:           12
        .value_kind:     by_value
      - .offset:         68
        .size:           12
        .value_kind:     by_value
      - .offset:         80
        .size:           4
        .value_kind:     hidden_block_count_x
      - .offset:         84
        .size:           4
        .value_kind:     hidden_block_count_y
      - .offset:         88
        .size:           4
        .value_kind:     hidden_block_count_z
      - .offset:         92
        .size:           2
        .value_kind:     hidden_group_size_x
      - .offset:         94
        .size:           2
        .value_kind:     hidden_group_size_y
      - .offset:         96
        .size:           2
        .value_kind:     hidden_group_size_z
      - .offset:         98
        .size:           2
        .value_kind:     hidden_remainder_x
      - .offset:         100
        .size:           2
        .value_kind:     hidden_remainder_y
      - .offset:         102
        .size:           2
        .value_kind:     hidden_remainder_z
      - .offset:         120
        .size:           8
        .value_kind:     hidden_global_offset_x
      - .offset:         128
        .size:           8
        .value_kind:     hidden_global_offset_y
      - .offset:         136
        .size:           8
        .value_kind:     hidden_global_offset_z
      - .offset:         144
        .size:           2
        .value_kind:     hidden_grid_dims
    .group_segment_fixed_size: 0
    .kernarg_segment_align: 8
    .kernarg_segment_size: 336
    .language:       OpenCL C
    .language_version:
      - 2
      - 0
    .max_flat_workgroup_size: 128
    .name:           _ZL33flash_attn_stream_k_fixup_generalILi128ELi1ELi16EEvPfPK15HIP_vector_typeIfLj2EEiiiiS1_IjLj3EES5_S5_S5_
    .private_segment_fixed_size: 0
    .sgpr_count:     34
    .sgpr_spill_count: 0
    .symbol:         _ZL33flash_attn_stream_k_fixup_generalILi128ELi1ELi16EEvPfPK15HIP_vector_typeIfLj2EEiiiiS1_IjLj3EES5_S5_S5_.kd
    .uniform_work_group_size: 1
    .uses_dynamic_stack: false
    .vgpr_count:     17
    .vgpr_spill_count: 0
    .wavefront_size: 32
    .workgroup_processor_mode: 1
  - .args:
      - .address_space:  global
        .offset:         0
        .size:           8
        .value_kind:     global_buffer
      - .address_space:  global
        .offset:         8
        .size:           8
        .value_kind:     global_buffer
      - .address_space:  global
        .offset:         16
        .size:           8
        .value_kind:     global_buffer
      - .address_space:  global
        .offset:         24
        .size:           8
        .value_kind:     global_buffer
      - .address_space:  global
        .offset:         32
        .size:           8
        .value_kind:     global_buffer
      - .address_space:  global
        .offset:         40
        .size:           8
        .value_kind:     global_buffer
      - .address_space:  global
        .offset:         48
        .size:           8
        .value_kind:     global_buffer
      - .address_space:  global
        .offset:         56
        .size:           8
        .value_kind:     global_buffer
      - .offset:         64
        .size:           4
        .value_kind:     by_value
      - .offset:         68
        .size:           4
        .value_kind:     by_value
      - .offset:         72
        .size:           4
        .value_kind:     by_value
      - .offset:         76
        .size:           4
        .value_kind:     by_value
      - .offset:         80
        .size:           4
        .value_kind:     by_value
      - .offset:         84
        .size:           4
        .value_kind:     by_value
      - .offset:         88
        .size:           4
        .value_kind:     by_value
      - .offset:         92
        .size:           12
        .value_kind:     by_value
      - .offset:         104
        .size:           4
        .value_kind:     by_value
      - .offset:         108
        .size:           4
        .value_kind:     by_value
      - .offset:         112
        .size:           4
        .value_kind:     by_value
      - .offset:         116
        .size:           4
        .value_kind:     by_value
      - .offset:         120
        .size:           4
        .value_kind:     by_value
      - .offset:         124
        .size:           4
        .value_kind:     by_value
      - .offset:         128
        .size:           4
        .value_kind:     by_value
      - .offset:         132
        .size:           4
        .value_kind:     by_value
      - .offset:         136
        .size:           4
        .value_kind:     by_value
      - .offset:         140
        .size:           4
        .value_kind:     by_value
      - .offset:         144
        .size:           4
        .value_kind:     by_value
      - .offset:         152
        .size:           8
        .value_kind:     by_value
      - .offset:         160
        .size:           4
        .value_kind:     by_value
      - .offset:         164
        .size:           4
        .value_kind:     by_value
      - .offset:         168
        .size:           8
        .value_kind:     by_value
      - .offset:         176
        .size:           4
        .value_kind:     by_value
      - .offset:         180
        .size:           4
        .value_kind:     by_value
      - .offset:         184
        .size:           4
        .value_kind:     by_value
      - .offset:         188
        .size:           4
        .value_kind:     by_value
      - .offset:         192
        .size:           4
        .value_kind:     by_value
      - .offset:         200
        .size:           8
        .value_kind:     by_value
      - .offset:         208
        .size:           4
        .value_kind:     hidden_block_count_x
      - .offset:         212
        .size:           4
        .value_kind:     hidden_block_count_y
      - .offset:         216
        .size:           4
        .value_kind:     hidden_block_count_z
      - .offset:         220
        .size:           2
        .value_kind:     hidden_group_size_x
      - .offset:         222
        .size:           2
        .value_kind:     hidden_group_size_y
      - .offset:         224
        .size:           2
        .value_kind:     hidden_group_size_z
      - .offset:         226
        .size:           2
        .value_kind:     hidden_remainder_x
      - .offset:         228
        .size:           2
        .value_kind:     hidden_remainder_y
      - .offset:         230
        .size:           2
        .value_kind:     hidden_remainder_z
      - .offset:         248
        .size:           8
        .value_kind:     hidden_global_offset_x
      - .offset:         256
        .size:           8
        .value_kind:     hidden_global_offset_y
      - .offset:         264
        .size:           8
        .value_kind:     hidden_global_offset_z
      - .offset:         272
        .size:           2
        .value_kind:     hidden_grid_dims
    .group_segment_fixed_size: 25600
    .kernarg_segment_align: 8
    .kernarg_segment_size: 464
    .language:       OpenCL C
    .language_version:
      - 2
      - 0
    .max_flat_workgroup_size: 256
    .name:           _ZL15flash_attn_tileILi192ELi128ELi4ELi8ELb0EEvPKcS1_S1_S1_S1_PKiPfP15HIP_vector_typeIfLj2EEffffjfiS5_IjLj3EEiiiiiiiiiiiliiliiiiil
    .private_segment_fixed_size: 0
    .sgpr_count:     42
    .sgpr_spill_count: 0
    .symbol:         _ZL15flash_attn_tileILi192ELi128ELi4ELi8ELb0EEvPKcS1_S1_S1_S1_PKiPfP15HIP_vector_typeIfLj2EEffffjfiS5_IjLj3EEiiiiiiiiiiiliiliiiiil.kd
    .uniform_work_group_size: 1
    .uses_dynamic_stack: false
    .vgpr_count:     139
    .vgpr_spill_count: 0
    .wavefront_size: 32
    .workgroup_processor_mode: 1
  - .args:
      - .actual_access:  read_only
        .address_space:  global
        .offset:         0
        .size:           8
        .value_kind:     global_buffer
      - .actual_access:  write_only
        .address_space:  global
        .offset:         8
        .size:           8
        .value_kind:     global_buffer
      - .offset:         16
        .size:           4
        .value_kind:     by_value
      - .offset:         20
        .size:           4
        .value_kind:     by_value
      - .offset:         24
        .size:           4
        .value_kind:     by_value
      - .offset:         32
        .size:           4
        .value_kind:     hidden_block_count_x
      - .offset:         36
        .size:           4
        .value_kind:     hidden_block_count_y
      - .offset:         40
        .size:           4
        .value_kind:     hidden_block_count_z
      - .offset:         44
        .size:           2
        .value_kind:     hidden_group_size_x
      - .offset:         46
        .size:           2
        .value_kind:     hidden_group_size_y
      - .offset:         48
        .size:           2
        .value_kind:     hidden_group_size_z
      - .offset:         50
        .size:           2
        .value_kind:     hidden_remainder_x
      - .offset:         52
        .size:           2
        .value_kind:     hidden_remainder_y
      - .offset:         54
        .size:           2
        .value_kind:     hidden_remainder_z
      - .offset:         72
        .size:           8
        .value_kind:     hidden_global_offset_x
      - .offset:         80
        .size:           8
        .value_kind:     hidden_global_offset_y
      - .offset:         88
        .size:           8
        .value_kind:     hidden_global_offset_z
      - .offset:         96
        .size:           2
        .value_kind:     hidden_grid_dims
    .group_segment_fixed_size: 128
    .kernarg_segment_align: 8
    .kernarg_segment_size: 288
    .language:       OpenCL C
    .language_version:
      - 2
      - 0
    .max_flat_workgroup_size: 128
    .name:           _ZL25flash_attn_mask_to_KV_maxILi4EEvPK7__half2Piiii
    .private_segment_fixed_size: 0
    .sgpr_count:     21
    .sgpr_spill_count: 0
    .symbol:         _ZL25flash_attn_mask_to_KV_maxILi4EEvPK7__half2Piiii.kd
    .uniform_work_group_size: 1
    .uses_dynamic_stack: false
    .vgpr_count:     10
    .vgpr_spill_count: 0
    .wavefront_size: 32
    .workgroup_processor_mode: 1
  - .args:
      - .address_space:  global
        .offset:         0
        .size:           8
        .value_kind:     global_buffer
      - .address_space:  global
        .offset:         8
        .size:           8
        .value_kind:     global_buffer
      - .offset:         16
        .size:           4
        .value_kind:     by_value
      - .offset:         20
        .size:           4
        .value_kind:     by_value
      - .offset:         24
        .size:           4
        .value_kind:     by_value
      - .offset:         28
        .size:           4
        .value_kind:     by_value
      - .offset:         32
        .size:           4
        .value_kind:     by_value
      - .offset:         36
        .size:           4
        .value_kind:     by_value
      - .offset:         40
        .size:           12
        .value_kind:     by_value
      - .offset:         52
        .size:           12
        .value_kind:     by_value
      - .offset:         64
        .size:           12
        .value_kind:     by_value
    .group_segment_fixed_size: 0
    .kernarg_segment_align: 8
    .kernarg_segment_size: 76
    .language:       OpenCL C
    .language_version:
      - 2
      - 0
    .max_flat_workgroup_size: 128
    .name:           _ZL33flash_attn_stream_k_fixup_uniformILi128ELi4ELi8EEvPfPK15HIP_vector_typeIfLj2EEiiiiiiS1_IjLj3EES5_S5_
    .private_segment_fixed_size: 0
    .sgpr_count:     26
    .sgpr_spill_count: 0
    .symbol:         _ZL33flash_attn_stream_k_fixup_uniformILi128ELi4ELi8EEvPfPK15HIP_vector_typeIfLj2EEiiiiiiS1_IjLj3EES5_S5_.kd
    .uniform_work_group_size: 1
    .uses_dynamic_stack: false
    .vgpr_count:     15
    .vgpr_spill_count: 0
    .wavefront_size: 32
    .workgroup_processor_mode: 1
  - .args:
      - .address_space:  global
        .offset:         0
        .size:           8
        .value_kind:     global_buffer
      - .address_space:  global
        .offset:         8
        .size:           8
        .value_kind:     global_buffer
      - .offset:         16
        .size:           4
        .value_kind:     by_value
      - .offset:         20
        .size:           4
        .value_kind:     by_value
      - .offset:         24
        .size:           4
        .value_kind:     by_value
      - .offset:         28
        .size:           4
        .value_kind:     by_value
      - .offset:         32
        .size:           12
        .value_kind:     by_value
      - .offset:         44
        .size:           12
        .value_kind:     by_value
      - .offset:         56
        .size:           12
        .value_kind:     by_value
      - .offset:         68
        .size:           12
        .value_kind:     by_value
      - .offset:         80
        .size:           4
        .value_kind:     hidden_block_count_x
      - .offset:         84
        .size:           4
        .value_kind:     hidden_block_count_y
      - .offset:         88
        .size:           4
        .value_kind:     hidden_block_count_z
      - .offset:         92
        .size:           2
        .value_kind:     hidden_group_size_x
      - .offset:         94
        .size:           2
        .value_kind:     hidden_group_size_y
      - .offset:         96
        .size:           2
        .value_kind:     hidden_group_size_z
      - .offset:         98
        .size:           2
        .value_kind:     hidden_remainder_x
      - .offset:         100
        .size:           2
        .value_kind:     hidden_remainder_y
      - .offset:         102
        .size:           2
        .value_kind:     hidden_remainder_z
      - .offset:         120
        .size:           8
        .value_kind:     hidden_global_offset_x
      - .offset:         128
        .size:           8
        .value_kind:     hidden_global_offset_y
      - .offset:         136
        .size:           8
        .value_kind:     hidden_global_offset_z
      - .offset:         144
        .size:           2
        .value_kind:     hidden_grid_dims
    .group_segment_fixed_size: 0
    .kernarg_segment_align: 8
    .kernarg_segment_size: 336
    .language:       OpenCL C
    .language_version:
      - 2
      - 0
    .max_flat_workgroup_size: 128
    .name:           _ZL33flash_attn_stream_k_fixup_generalILi128ELi4ELi8EEvPfPK15HIP_vector_typeIfLj2EEiiiiS1_IjLj3EES5_S5_S5_
    .private_segment_fixed_size: 0
    .sgpr_count:     33
    .sgpr_spill_count: 0
    .symbol:         _ZL33flash_attn_stream_k_fixup_generalILi128ELi4ELi8EEvPfPK15HIP_vector_typeIfLj2EEiiiiS1_IjLj3EES5_S5_S5_.kd
    .uniform_work_group_size: 1
    .uses_dynamic_stack: false
    .vgpr_count:     17
    .vgpr_spill_count: 0
    .wavefront_size: 32
    .workgroup_processor_mode: 1
  - .args:
      - .address_space:  global
        .offset:         0
        .size:           8
        .value_kind:     global_buffer
      - .address_space:  global
        .offset:         8
        .size:           8
        .value_kind:     global_buffer
      - .address_space:  global
        .offset:         16
        .size:           8
        .value_kind:     global_buffer
      - .address_space:  global
        .offset:         24
        .size:           8
        .value_kind:     global_buffer
      - .address_space:  global
        .offset:         32
        .size:           8
        .value_kind:     global_buffer
      - .address_space:  global
        .offset:         40
        .size:           8
        .value_kind:     global_buffer
      - .address_space:  global
        .offset:         48
        .size:           8
        .value_kind:     global_buffer
      - .address_space:  global
        .offset:         56
        .size:           8
        .value_kind:     global_buffer
      - .offset:         64
        .size:           4
        .value_kind:     by_value
      - .offset:         68
        .size:           4
        .value_kind:     by_value
      - .offset:         72
        .size:           4
        .value_kind:     by_value
      - .offset:         76
        .size:           4
        .value_kind:     by_value
      - .offset:         80
        .size:           4
        .value_kind:     by_value
      - .offset:         84
        .size:           4
        .value_kind:     by_value
      - .offset:         88
        .size:           4
        .value_kind:     by_value
      - .offset:         92
        .size:           12
        .value_kind:     by_value
      - .offset:         104
        .size:           4
        .value_kind:     by_value
      - .offset:         108
        .size:           4
        .value_kind:     by_value
      - .offset:         112
        .size:           4
        .value_kind:     by_value
      - .offset:         116
        .size:           4
        .value_kind:     by_value
      - .offset:         120
        .size:           4
        .value_kind:     by_value
      - .offset:         124
        .size:           4
        .value_kind:     by_value
      - .offset:         128
        .size:           4
        .value_kind:     by_value
      - .offset:         132
        .size:           4
        .value_kind:     by_value
      - .offset:         136
        .size:           4
        .value_kind:     by_value
      - .offset:         140
        .size:           4
        .value_kind:     by_value
      - .offset:         144
        .size:           4
        .value_kind:     by_value
      - .offset:         152
        .size:           8
        .value_kind:     by_value
      - .offset:         160
        .size:           4
        .value_kind:     by_value
      - .offset:         164
        .size:           4
        .value_kind:     by_value
      - .offset:         168
        .size:           8
        .value_kind:     by_value
      - .offset:         176
        .size:           4
        .value_kind:     by_value
      - .offset:         180
        .size:           4
        .value_kind:     by_value
      - .offset:         184
        .size:           4
        .value_kind:     by_value
      - .offset:         188
        .size:           4
        .value_kind:     by_value
      - .offset:         192
        .size:           4
        .value_kind:     by_value
      - .offset:         200
        .size:           8
        .value_kind:     by_value
      - .offset:         208
        .size:           4
        .value_kind:     hidden_block_count_x
      - .offset:         212
        .size:           4
        .value_kind:     hidden_block_count_y
      - .offset:         216
        .size:           4
        .value_kind:     hidden_block_count_z
      - .offset:         220
        .size:           2
        .value_kind:     hidden_group_size_x
      - .offset:         222
        .size:           2
        .value_kind:     hidden_group_size_y
      - .offset:         224
        .size:           2
        .value_kind:     hidden_group_size_z
      - .offset:         226
        .size:           2
        .value_kind:     hidden_remainder_x
      - .offset:         228
        .size:           2
        .value_kind:     hidden_remainder_y
      - .offset:         230
        .size:           2
        .value_kind:     hidden_remainder_z
      - .offset:         248
        .size:           8
        .value_kind:     hidden_global_offset_x
      - .offset:         256
        .size:           8
        .value_kind:     hidden_global_offset_y
      - .offset:         264
        .size:           8
        .value_kind:     hidden_global_offset_z
      - .offset:         272
        .size:           2
        .value_kind:     hidden_grid_dims
    .group_segment_fixed_size: 11776
    .kernarg_segment_align: 8
    .kernarg_segment_size: 464
    .language:       OpenCL C
    .language_version:
      - 2
      - 0
    .max_flat_workgroup_size: 256
    .name:           _ZL15flash_attn_tileILi192ELi128ELi2ELi8ELb0EEvPKcS1_S1_S1_S1_PKiPfP15HIP_vector_typeIfLj2EEffffjfiS5_IjLj3EEiiiiiiiiiiiliiliiiiil
    .private_segment_fixed_size: 0
    .sgpr_count:     42
    .sgpr_spill_count: 0
    .symbol:         _ZL15flash_attn_tileILi192ELi128ELi2ELi8ELb0EEvPKcS1_S1_S1_S1_PKiPfP15HIP_vector_typeIfLj2EEffffjfiS5_IjLj3EEiiiiiiiiiiiliiliiiiil.kd
    .uniform_work_group_size: 1
    .uses_dynamic_stack: false
    .vgpr_count:     70
    .vgpr_spill_count: 0
    .wavefront_size: 32
    .workgroup_processor_mode: 1
  - .args:
      - .address_space:  global
        .offset:         0
        .size:           8
        .value_kind:     global_buffer
      - .address_space:  global
        .offset:         8
        .size:           8
        .value_kind:     global_buffer
      - .offset:         16
        .size:           4
        .value_kind:     by_value
      - .offset:         20
        .size:           4
        .value_kind:     by_value
      - .offset:         24
        .size:           4
        .value_kind:     by_value
      - .offset:         28
        .size:           4
        .value_kind:     by_value
      - .offset:         32
        .size:           4
        .value_kind:     by_value
      - .offset:         36
        .size:           4
        .value_kind:     by_value
      - .offset:         40
        .size:           12
        .value_kind:     by_value
      - .offset:         52
        .size:           12
        .value_kind:     by_value
      - .offset:         64
        .size:           12
        .value_kind:     by_value
    .group_segment_fixed_size: 0
    .kernarg_segment_align: 8
    .kernarg_segment_size: 76
    .language:       OpenCL C
    .language_version:
      - 2
      - 0
    .max_flat_workgroup_size: 128
    .name:           _ZL33flash_attn_stream_k_fixup_uniformILi128ELi2ELi8EEvPfPK15HIP_vector_typeIfLj2EEiiiiiiS1_IjLj3EES5_S5_
    .private_segment_fixed_size: 0
    .sgpr_count:     26
    .sgpr_spill_count: 0
    .symbol:         _ZL33flash_attn_stream_k_fixup_uniformILi128ELi2ELi8EEvPfPK15HIP_vector_typeIfLj2EEiiiiiiS1_IjLj3EES5_S5_.kd
    .uniform_work_group_size: 1
    .uses_dynamic_stack: false
    .vgpr_count:     15
    .vgpr_spill_count: 0
    .wavefront_size: 32
    .workgroup_processor_mode: 1
  - .args:
      - .address_space:  global
        .offset:         0
        .size:           8
        .value_kind:     global_buffer
      - .address_space:  global
        .offset:         8
        .size:           8
        .value_kind:     global_buffer
      - .offset:         16
        .size:           4
        .value_kind:     by_value
      - .offset:         20
        .size:           4
        .value_kind:     by_value
      - .offset:         24
        .size:           4
        .value_kind:     by_value
      - .offset:         28
        .size:           4
        .value_kind:     by_value
      - .offset:         32
        .size:           12
        .value_kind:     by_value
      - .offset:         44
        .size:           12
        .value_kind:     by_value
      - .offset:         56
        .size:           12
        .value_kind:     by_value
      - .offset:         68
        .size:           12
        .value_kind:     by_value
      - .offset:         80
        .size:           4
        .value_kind:     hidden_block_count_x
      - .offset:         84
        .size:           4
        .value_kind:     hidden_block_count_y
      - .offset:         88
        .size:           4
        .value_kind:     hidden_block_count_z
      - .offset:         92
        .size:           2
        .value_kind:     hidden_group_size_x
      - .offset:         94
        .size:           2
        .value_kind:     hidden_group_size_y
      - .offset:         96
        .size:           2
        .value_kind:     hidden_group_size_z
      - .offset:         98
        .size:           2
        .value_kind:     hidden_remainder_x
      - .offset:         100
        .size:           2
        .value_kind:     hidden_remainder_y
      - .offset:         102
        .size:           2
        .value_kind:     hidden_remainder_z
      - .offset:         120
        .size:           8
        .value_kind:     hidden_global_offset_x
      - .offset:         128
        .size:           8
        .value_kind:     hidden_global_offset_y
      - .offset:         136
        .size:           8
        .value_kind:     hidden_global_offset_z
      - .offset:         144
        .size:           2
        .value_kind:     hidden_grid_dims
    .group_segment_fixed_size: 0
    .kernarg_segment_align: 8
    .kernarg_segment_size: 336
    .language:       OpenCL C
    .language_version:
      - 2
      - 0
    .max_flat_workgroup_size: 128
    .name:           _ZL33flash_attn_stream_k_fixup_generalILi128ELi2ELi8EEvPfPK15HIP_vector_typeIfLj2EEiiiiS1_IjLj3EES5_S5_S5_
    .private_segment_fixed_size: 0
    .sgpr_count:     33
    .sgpr_spill_count: 0
    .symbol:         _ZL33flash_attn_stream_k_fixup_generalILi128ELi2ELi8EEvPfPK15HIP_vector_typeIfLj2EEiiiiS1_IjLj3EES5_S5_S5_.kd
    .uniform_work_group_size: 1
    .uses_dynamic_stack: false
    .vgpr_count:     17
    .vgpr_spill_count: 0
    .wavefront_size: 32
    .workgroup_processor_mode: 1
  - .args:
      - .address_space:  global
        .offset:         0
        .size:           8
        .value_kind:     global_buffer
      - .address_space:  global
        .offset:         8
        .size:           8
        .value_kind:     global_buffer
      - .address_space:  global
        .offset:         16
        .size:           8
        .value_kind:     global_buffer
      - .address_space:  global
        .offset:         24
        .size:           8
        .value_kind:     global_buffer
      - .address_space:  global
        .offset:         32
        .size:           8
        .value_kind:     global_buffer
      - .address_space:  global
        .offset:         40
        .size:           8
        .value_kind:     global_buffer
      - .address_space:  global
        .offset:         48
        .size:           8
        .value_kind:     global_buffer
      - .address_space:  global
        .offset:         56
        .size:           8
        .value_kind:     global_buffer
      - .offset:         64
        .size:           4
        .value_kind:     by_value
      - .offset:         68
        .size:           4
        .value_kind:     by_value
      - .offset:         72
        .size:           4
        .value_kind:     by_value
      - .offset:         76
        .size:           4
        .value_kind:     by_value
      - .offset:         80
        .size:           4
        .value_kind:     by_value
      - .offset:         84
        .size:           4
        .value_kind:     by_value
      - .offset:         88
        .size:           4
        .value_kind:     by_value
      - .offset:         92
        .size:           12
        .value_kind:     by_value
      - .offset:         104
        .size:           4
        .value_kind:     by_value
      - .offset:         108
        .size:           4
        .value_kind:     by_value
      - .offset:         112
        .size:           4
        .value_kind:     by_value
      - .offset:         116
        .size:           4
        .value_kind:     by_value
      - .offset:         120
        .size:           4
        .value_kind:     by_value
      - .offset:         124
        .size:           4
        .value_kind:     by_value
      - .offset:         128
        .size:           4
        .value_kind:     by_value
      - .offset:         132
        .size:           4
        .value_kind:     by_value
      - .offset:         136
        .size:           4
        .value_kind:     by_value
      - .offset:         140
        .size:           4
        .value_kind:     by_value
      - .offset:         144
        .size:           4
        .value_kind:     by_value
      - .offset:         152
        .size:           8
        .value_kind:     by_value
      - .offset:         160
        .size:           4
        .value_kind:     by_value
      - .offset:         164
        .size:           4
        .value_kind:     by_value
      - .offset:         168
        .size:           8
        .value_kind:     by_value
      - .offset:         176
        .size:           4
        .value_kind:     by_value
      - .offset:         180
        .size:           4
        .value_kind:     by_value
      - .offset:         184
        .size:           4
        .value_kind:     by_value
      - .offset:         188
        .size:           4
        .value_kind:     by_value
      - .offset:         192
        .size:           4
        .value_kind:     by_value
      - .offset:         200
        .size:           8
        .value_kind:     by_value
      - .offset:         208
        .size:           4
        .value_kind:     hidden_block_count_x
      - .offset:         212
        .size:           4
        .value_kind:     hidden_block_count_y
      - .offset:         216
        .size:           4
        .value_kind:     hidden_block_count_z
      - .offset:         220
        .size:           2
        .value_kind:     hidden_group_size_x
      - .offset:         222
        .size:           2
        .value_kind:     hidden_group_size_y
      - .offset:         224
        .size:           2
        .value_kind:     hidden_group_size_z
      - .offset:         226
        .size:           2
        .value_kind:     hidden_remainder_x
      - .offset:         228
        .size:           2
        .value_kind:     hidden_remainder_y
      - .offset:         230
        .size:           2
        .value_kind:     hidden_remainder_z
      - .offset:         248
        .size:           8
        .value_kind:     hidden_global_offset_x
      - .offset:         256
        .size:           8
        .value_kind:     hidden_global_offset_y
      - .offset:         264
        .size:           8
        .value_kind:     hidden_global_offset_z
      - .offset:         272
        .size:           2
        .value_kind:     hidden_grid_dims
    .group_segment_fixed_size: 8192
    .kernarg_segment_align: 8
    .kernarg_segment_size: 464
    .language:       OpenCL C
    .language_version:
      - 2
      - 0
    .max_flat_workgroup_size: 128
    .name:           _ZL15flash_attn_tileILi192ELi128ELi1ELi8ELb0EEvPKcS1_S1_S1_S1_PKiPfP15HIP_vector_typeIfLj2EEffffjfiS5_IjLj3EEiiiiiiiiiiiliiliiiiil
    .private_segment_fixed_size: 0
    .sgpr_count:     46
    .sgpr_spill_count: 0
    .symbol:         _ZL15flash_attn_tileILi192ELi128ELi1ELi8ELb0EEvPKcS1_S1_S1_S1_PKiPfP15HIP_vector_typeIfLj2EEffffjfiS5_IjLj3EEiiiiiiiiiiiliiliiiiil.kd
    .uniform_work_group_size: 1
    .uses_dynamic_stack: false
    .vgpr_count:     68
    .vgpr_spill_count: 0
    .wavefront_size: 32
    .workgroup_processor_mode: 1
  - .args:
      - .address_space:  global
        .offset:         0
        .size:           8
        .value_kind:     global_buffer
      - .address_space:  global
        .offset:         8
        .size:           8
        .value_kind:     global_buffer
      - .offset:         16
        .size:           4
        .value_kind:     by_value
      - .offset:         20
        .size:           4
        .value_kind:     by_value
      - .offset:         24
        .size:           4
        .value_kind:     by_value
      - .offset:         28
        .size:           4
        .value_kind:     by_value
      - .offset:         32
        .size:           4
        .value_kind:     by_value
      - .offset:         36
        .size:           4
        .value_kind:     by_value
      - .offset:         40
        .size:           12
        .value_kind:     by_value
      - .offset:         52
        .size:           12
        .value_kind:     by_value
      - .offset:         64
        .size:           12
        .value_kind:     by_value
    .group_segment_fixed_size: 0
    .kernarg_segment_align: 8
    .kernarg_segment_size: 76
    .language:       OpenCL C
    .language_version:
      - 2
      - 0
    .max_flat_workgroup_size: 128
    .name:           _ZL33flash_attn_stream_k_fixup_uniformILi128ELi1ELi8EEvPfPK15HIP_vector_typeIfLj2EEiiiiiiS1_IjLj3EES5_S5_
    .private_segment_fixed_size: 0
    .sgpr_count:     22
    .sgpr_spill_count: 0
    .symbol:         _ZL33flash_attn_stream_k_fixup_uniformILi128ELi1ELi8EEvPfPK15HIP_vector_typeIfLj2EEiiiiiiS1_IjLj3EES5_S5_.kd
    .uniform_work_group_size: 1
    .uses_dynamic_stack: false
    .vgpr_count:     15
    .vgpr_spill_count: 0
    .wavefront_size: 32
    .workgroup_processor_mode: 1
  - .args:
      - .address_space:  global
        .offset:         0
        .size:           8
        .value_kind:     global_buffer
      - .address_space:  global
        .offset:         8
        .size:           8
        .value_kind:     global_buffer
      - .offset:         16
        .size:           4
        .value_kind:     by_value
      - .offset:         20
        .size:           4
        .value_kind:     by_value
      - .offset:         24
        .size:           4
        .value_kind:     by_value
      - .offset:         28
        .size:           4
        .value_kind:     by_value
      - .offset:         32
        .size:           12
        .value_kind:     by_value
      - .offset:         44
        .size:           12
        .value_kind:     by_value
      - .offset:         56
        .size:           12
        .value_kind:     by_value
      - .offset:         68
        .size:           12
        .value_kind:     by_value
      - .offset:         80
        .size:           4
        .value_kind:     hidden_block_count_x
      - .offset:         84
        .size:           4
        .value_kind:     hidden_block_count_y
      - .offset:         88
        .size:           4
        .value_kind:     hidden_block_count_z
      - .offset:         92
        .size:           2
        .value_kind:     hidden_group_size_x
      - .offset:         94
        .size:           2
        .value_kind:     hidden_group_size_y
      - .offset:         96
        .size:           2
        .value_kind:     hidden_group_size_z
      - .offset:         98
        .size:           2
        .value_kind:     hidden_remainder_x
      - .offset:         100
        .size:           2
        .value_kind:     hidden_remainder_y
      - .offset:         102
        .size:           2
        .value_kind:     hidden_remainder_z
      - .offset:         120
        .size:           8
        .value_kind:     hidden_global_offset_x
      - .offset:         128
        .size:           8
        .value_kind:     hidden_global_offset_y
      - .offset:         136
        .size:           8
        .value_kind:     hidden_global_offset_z
      - .offset:         144
        .size:           2
        .value_kind:     hidden_grid_dims
    .group_segment_fixed_size: 0
    .kernarg_segment_align: 8
    .kernarg_segment_size: 336
    .language:       OpenCL C
    .language_version:
      - 2
      - 0
    .max_flat_workgroup_size: 128
    .name:           _ZL33flash_attn_stream_k_fixup_generalILi128ELi1ELi8EEvPfPK15HIP_vector_typeIfLj2EEiiiiS1_IjLj3EES5_S5_S5_
    .private_segment_fixed_size: 0
    .sgpr_count:     34
    .sgpr_spill_count: 0
    .symbol:         _ZL33flash_attn_stream_k_fixup_generalILi128ELi1ELi8EEvPfPK15HIP_vector_typeIfLj2EEiiiiS1_IjLj3EES5_S5_S5_.kd
    .uniform_work_group_size: 1
    .uses_dynamic_stack: false
    .vgpr_count:     17
    .vgpr_spill_count: 0
    .wavefront_size: 32
    .workgroup_processor_mode: 1
  - .args:
      - .address_space:  global
        .offset:         0
        .size:           8
        .value_kind:     global_buffer
      - .address_space:  global
        .offset:         8
        .size:           8
        .value_kind:     global_buffer
      - .address_space:  global
        .offset:         16
        .size:           8
        .value_kind:     global_buffer
      - .address_space:  global
        .offset:         24
        .size:           8
        .value_kind:     global_buffer
      - .address_space:  global
        .offset:         32
        .size:           8
        .value_kind:     global_buffer
      - .address_space:  global
        .offset:         40
        .size:           8
        .value_kind:     global_buffer
      - .address_space:  global
        .offset:         48
        .size:           8
        .value_kind:     global_buffer
      - .address_space:  global
        .offset:         56
        .size:           8
        .value_kind:     global_buffer
      - .offset:         64
        .size:           4
        .value_kind:     by_value
      - .offset:         68
        .size:           4
        .value_kind:     by_value
      - .offset:         72
        .size:           4
        .value_kind:     by_value
      - .offset:         76
        .size:           4
        .value_kind:     by_value
      - .offset:         80
        .size:           4
        .value_kind:     by_value
      - .offset:         84
        .size:           4
        .value_kind:     by_value
      - .offset:         88
        .size:           4
        .value_kind:     by_value
      - .offset:         92
        .size:           12
        .value_kind:     by_value
      - .offset:         104
        .size:           4
        .value_kind:     by_value
      - .offset:         108
        .size:           4
        .value_kind:     by_value
      - .offset:         112
        .size:           4
        .value_kind:     by_value
      - .offset:         116
        .size:           4
        .value_kind:     by_value
      - .offset:         120
        .size:           4
        .value_kind:     by_value
      - .offset:         124
        .size:           4
        .value_kind:     by_value
      - .offset:         128
        .size:           4
        .value_kind:     by_value
      - .offset:         132
        .size:           4
        .value_kind:     by_value
      - .offset:         136
        .size:           4
        .value_kind:     by_value
      - .offset:         140
        .size:           4
        .value_kind:     by_value
      - .offset:         144
        .size:           4
        .value_kind:     by_value
      - .offset:         152
        .size:           8
        .value_kind:     by_value
      - .offset:         160
        .size:           4
        .value_kind:     by_value
      - .offset:         164
        .size:           4
        .value_kind:     by_value
      - .offset:         168
        .size:           8
        .value_kind:     by_value
      - .offset:         176
        .size:           4
        .value_kind:     by_value
      - .offset:         180
        .size:           4
        .value_kind:     by_value
      - .offset:         184
        .size:           4
        .value_kind:     by_value
      - .offset:         188
        .size:           4
        .value_kind:     by_value
      - .offset:         192
        .size:           4
        .value_kind:     by_value
      - .offset:         200
        .size:           8
        .value_kind:     by_value
      - .offset:         208
        .size:           4
        .value_kind:     hidden_block_count_x
      - .offset:         212
        .size:           4
        .value_kind:     hidden_block_count_y
      - .offset:         216
        .size:           4
        .value_kind:     hidden_block_count_z
      - .offset:         220
        .size:           2
        .value_kind:     hidden_group_size_x
      - .offset:         222
        .size:           2
        .value_kind:     hidden_group_size_y
      - .offset:         224
        .size:           2
        .value_kind:     hidden_group_size_z
      - .offset:         226
        .size:           2
        .value_kind:     hidden_remainder_x
      - .offset:         228
        .size:           2
        .value_kind:     hidden_remainder_y
      - .offset:         230
        .size:           2
        .value_kind:     hidden_remainder_z
      - .offset:         248
        .size:           8
        .value_kind:     hidden_global_offset_x
      - .offset:         256
        .size:           8
        .value_kind:     hidden_global_offset_y
      - .offset:         264
        .size:           8
        .value_kind:     hidden_global_offset_z
      - .offset:         272
        .size:           2
        .value_kind:     hidden_grid_dims
    .group_segment_fixed_size: 25600
    .kernarg_segment_align: 8
    .kernarg_segment_size: 464
    .language:       OpenCL C
    .language_version:
      - 2
      - 0
    .max_flat_workgroup_size: 256
    .name:           _ZL15flash_attn_tileILi192ELi128ELi2ELi16ELb1EEvPKcS1_S1_S1_S1_PKiPfP15HIP_vector_typeIfLj2EEffffjfiS5_IjLj3EEiiiiiiiiiiiliiliiiiil
    .private_segment_fixed_size: 0
    .sgpr_count:     42
    .sgpr_spill_count: 0
    .symbol:         _ZL15flash_attn_tileILi192ELi128ELi2ELi16ELb1EEvPKcS1_S1_S1_S1_PKiPfP15HIP_vector_typeIfLj2EEffffjfiS5_IjLj3EEiiiiiiiiiiiliiliiiiil.kd
    .uniform_work_group_size: 1
    .uses_dynamic_stack: false
    .vgpr_count:     147
    .vgpr_spill_count: 0
    .wavefront_size: 32
    .workgroup_processor_mode: 1
  - .args:
      - .address_space:  global
        .offset:         0
        .size:           8
        .value_kind:     global_buffer
      - .address_space:  global
        .offset:         8
        .size:           8
        .value_kind:     global_buffer
      - .address_space:  global
        .offset:         16
        .size:           8
        .value_kind:     global_buffer
      - .address_space:  global
        .offset:         24
        .size:           8
        .value_kind:     global_buffer
      - .address_space:  global
        .offset:         32
        .size:           8
        .value_kind:     global_buffer
      - .address_space:  global
        .offset:         40
        .size:           8
        .value_kind:     global_buffer
      - .address_space:  global
        .offset:         48
        .size:           8
        .value_kind:     global_buffer
      - .address_space:  global
        .offset:         56
        .size:           8
        .value_kind:     global_buffer
      - .offset:         64
        .size:           4
        .value_kind:     by_value
      - .offset:         68
        .size:           4
        .value_kind:     by_value
      - .offset:         72
        .size:           4
        .value_kind:     by_value
      - .offset:         76
        .size:           4
        .value_kind:     by_value
      - .offset:         80
        .size:           4
        .value_kind:     by_value
      - .offset:         84
        .size:           4
        .value_kind:     by_value
      - .offset:         88
        .size:           4
        .value_kind:     by_value
      - .offset:         92
        .size:           12
        .value_kind:     by_value
      - .offset:         104
        .size:           4
        .value_kind:     by_value
      - .offset:         108
        .size:           4
        .value_kind:     by_value
      - .offset:         112
        .size:           4
        .value_kind:     by_value
      - .offset:         116
        .size:           4
        .value_kind:     by_value
      - .offset:         120
        .size:           4
        .value_kind:     by_value
      - .offset:         124
        .size:           4
        .value_kind:     by_value
      - .offset:         128
        .size:           4
        .value_kind:     by_value
      - .offset:         132
        .size:           4
        .value_kind:     by_value
      - .offset:         136
        .size:           4
        .value_kind:     by_value
      - .offset:         140
        .size:           4
        .value_kind:     by_value
      - .offset:         144
        .size:           4
        .value_kind:     by_value
      - .offset:         152
        .size:           8
        .value_kind:     by_value
      - .offset:         160
        .size:           4
        .value_kind:     by_value
      - .offset:         164
        .size:           4
        .value_kind:     by_value
      - .offset:         168
        .size:           8
        .value_kind:     by_value
      - .offset:         176
        .size:           4
        .value_kind:     by_value
      - .offset:         180
        .size:           4
        .value_kind:     by_value
      - .offset:         184
        .size:           4
        .value_kind:     by_value
      - .offset:         188
        .size:           4
        .value_kind:     by_value
      - .offset:         192
        .size:           4
        .value_kind:     by_value
      - .offset:         200
        .size:           8
        .value_kind:     by_value
      - .offset:         208
        .size:           4
        .value_kind:     hidden_block_count_x
      - .offset:         212
        .size:           4
        .value_kind:     hidden_block_count_y
      - .offset:         216
        .size:           4
        .value_kind:     hidden_block_count_z
      - .offset:         220
        .size:           2
        .value_kind:     hidden_group_size_x
      - .offset:         222
        .size:           2
        .value_kind:     hidden_group_size_y
      - .offset:         224
        .size:           2
        .value_kind:     hidden_group_size_z
      - .offset:         226
        .size:           2
        .value_kind:     hidden_remainder_x
      - .offset:         228
        .size:           2
        .value_kind:     hidden_remainder_y
      - .offset:         230
        .size:           2
        .value_kind:     hidden_remainder_z
      - .offset:         248
        .size:           8
        .value_kind:     hidden_global_offset_x
      - .offset:         256
        .size:           8
        .value_kind:     hidden_global_offset_y
      - .offset:         264
        .size:           8
        .value_kind:     hidden_global_offset_z
      - .offset:         272
        .size:           2
        .value_kind:     hidden_grid_dims
    .group_segment_fixed_size: 11776
    .kernarg_segment_align: 8
    .kernarg_segment_size: 464
    .language:       OpenCL C
    .language_version:
      - 2
      - 0
    .max_flat_workgroup_size: 256
    .name:           _ZL15flash_attn_tileILi192ELi128ELi1ELi16ELb1EEvPKcS1_S1_S1_S1_PKiPfP15HIP_vector_typeIfLj2EEffffjfiS5_IjLj3EEiiiiiiiiiiiliiliiiiil
    .private_segment_fixed_size: 0
    .sgpr_count:     42
    .sgpr_spill_count: 0
    .symbol:         _ZL15flash_attn_tileILi192ELi128ELi1ELi16ELb1EEvPKcS1_S1_S1_S1_PKiPfP15HIP_vector_typeIfLj2EEffffjfiS5_IjLj3EEiiiiiiiiiiiliiliiiiil.kd
    .uniform_work_group_size: 1
    .uses_dynamic_stack: false
    .vgpr_count:     94
    .vgpr_spill_count: 0
    .wavefront_size: 32
    .workgroup_processor_mode: 1
  - .args:
      - .address_space:  global
        .offset:         0
        .size:           8
        .value_kind:     global_buffer
      - .address_space:  global
        .offset:         8
        .size:           8
        .value_kind:     global_buffer
      - .address_space:  global
        .offset:         16
        .size:           8
        .value_kind:     global_buffer
      - .address_space:  global
        .offset:         24
        .size:           8
        .value_kind:     global_buffer
      - .address_space:  global
        .offset:         32
        .size:           8
        .value_kind:     global_buffer
      - .address_space:  global
        .offset:         40
        .size:           8
        .value_kind:     global_buffer
      - .address_space:  global
        .offset:         48
        .size:           8
        .value_kind:     global_buffer
      - .address_space:  global
        .offset:         56
        .size:           8
        .value_kind:     global_buffer
      - .offset:         64
        .size:           4
        .value_kind:     by_value
      - .offset:         68
        .size:           4
        .value_kind:     by_value
      - .offset:         72
        .size:           4
        .value_kind:     by_value
      - .offset:         76
        .size:           4
        .value_kind:     by_value
      - .offset:         80
        .size:           4
        .value_kind:     by_value
      - .offset:         84
        .size:           4
        .value_kind:     by_value
      - .offset:         88
        .size:           4
        .value_kind:     by_value
      - .offset:         92
        .size:           12
        .value_kind:     by_value
      - .offset:         104
        .size:           4
        .value_kind:     by_value
      - .offset:         108
        .size:           4
        .value_kind:     by_value
      - .offset:         112
        .size:           4
        .value_kind:     by_value
      - .offset:         116
        .size:           4
        .value_kind:     by_value
      - .offset:         120
        .size:           4
        .value_kind:     by_value
      - .offset:         124
        .size:           4
        .value_kind:     by_value
      - .offset:         128
        .size:           4
        .value_kind:     by_value
      - .offset:         132
        .size:           4
        .value_kind:     by_value
      - .offset:         136
        .size:           4
        .value_kind:     by_value
      - .offset:         140
        .size:           4
        .value_kind:     by_value
      - .offset:         144
        .size:           4
        .value_kind:     by_value
      - .offset:         152
        .size:           8
        .value_kind:     by_value
      - .offset:         160
        .size:           4
        .value_kind:     by_value
      - .offset:         164
        .size:           4
        .value_kind:     by_value
      - .offset:         168
        .size:           8
        .value_kind:     by_value
      - .offset:         176
        .size:           4
        .value_kind:     by_value
      - .offset:         180
        .size:           4
        .value_kind:     by_value
      - .offset:         184
        .size:           4
        .value_kind:     by_value
      - .offset:         188
        .size:           4
        .value_kind:     by_value
      - .offset:         192
        .size:           4
        .value_kind:     by_value
      - .offset:         200
        .size:           8
        .value_kind:     by_value
      - .offset:         208
        .size:           4
        .value_kind:     hidden_block_count_x
      - .offset:         212
        .size:           4
        .value_kind:     hidden_block_count_y
      - .offset:         216
        .size:           4
        .value_kind:     hidden_block_count_z
      - .offset:         220
        .size:           2
        .value_kind:     hidden_group_size_x
      - .offset:         222
        .size:           2
        .value_kind:     hidden_group_size_y
      - .offset:         224
        .size:           2
        .value_kind:     hidden_group_size_z
      - .offset:         226
        .size:           2
        .value_kind:     hidden_remainder_x
      - .offset:         228
        .size:           2
        .value_kind:     hidden_remainder_y
      - .offset:         230
        .size:           2
        .value_kind:     hidden_remainder_z
      - .offset:         248
        .size:           8
        .value_kind:     hidden_global_offset_x
      - .offset:         256
        .size:           8
        .value_kind:     hidden_global_offset_y
      - .offset:         264
        .size:           8
        .value_kind:     hidden_global_offset_z
      - .offset:         272
        .size:           2
        .value_kind:     hidden_grid_dims
    .group_segment_fixed_size: 25600
    .kernarg_segment_align: 8
    .kernarg_segment_size: 464
    .language:       OpenCL C
    .language_version:
      - 2
      - 0
    .max_flat_workgroup_size: 256
    .name:           _ZL15flash_attn_tileILi192ELi128ELi4ELi8ELb1EEvPKcS1_S1_S1_S1_PKiPfP15HIP_vector_typeIfLj2EEffffjfiS5_IjLj3EEiiiiiiiiiiiliiliiiiil
    .private_segment_fixed_size: 0
    .sgpr_count:     42
    .sgpr_spill_count: 0
    .symbol:         _ZL15flash_attn_tileILi192ELi128ELi4ELi8ELb1EEvPKcS1_S1_S1_S1_PKiPfP15HIP_vector_typeIfLj2EEffffjfiS5_IjLj3EEiiiiiiiiiiiliiliiiiil.kd
    .uniform_work_group_size: 1
    .uses_dynamic_stack: false
    .vgpr_count:     147
    .vgpr_spill_count: 0
    .wavefront_size: 32
    .workgroup_processor_mode: 1
  - .args:
      - .address_space:  global
        .offset:         0
        .size:           8
        .value_kind:     global_buffer
      - .address_space:  global
        .offset:         8
        .size:           8
        .value_kind:     global_buffer
      - .address_space:  global
        .offset:         16
        .size:           8
        .value_kind:     global_buffer
      - .address_space:  global
        .offset:         24
        .size:           8
        .value_kind:     global_buffer
      - .address_space:  global
        .offset:         32
        .size:           8
        .value_kind:     global_buffer
      - .address_space:  global
        .offset:         40
        .size:           8
        .value_kind:     global_buffer
      - .address_space:  global
        .offset:         48
        .size:           8
        .value_kind:     global_buffer
      - .address_space:  global
        .offset:         56
        .size:           8
        .value_kind:     global_buffer
      - .offset:         64
        .size:           4
        .value_kind:     by_value
      - .offset:         68
        .size:           4
        .value_kind:     by_value
      - .offset:         72
        .size:           4
        .value_kind:     by_value
      - .offset:         76
        .size:           4
        .value_kind:     by_value
      - .offset:         80
        .size:           4
        .value_kind:     by_value
      - .offset:         84
        .size:           4
        .value_kind:     by_value
      - .offset:         88
        .size:           4
        .value_kind:     by_value
      - .offset:         92
        .size:           12
        .value_kind:     by_value
      - .offset:         104
        .size:           4
        .value_kind:     by_value
      - .offset:         108
        .size:           4
        .value_kind:     by_value
      - .offset:         112
        .size:           4
        .value_kind:     by_value
      - .offset:         116
        .size:           4
        .value_kind:     by_value
      - .offset:         120
        .size:           4
        .value_kind:     by_value
      - .offset:         124
        .size:           4
        .value_kind:     by_value
      - .offset:         128
        .size:           4
        .value_kind:     by_value
      - .offset:         132
        .size:           4
        .value_kind:     by_value
      - .offset:         136
        .size:           4
        .value_kind:     by_value
      - .offset:         140
        .size:           4
        .value_kind:     by_value
      - .offset:         144
        .size:           4
        .value_kind:     by_value
      - .offset:         152
        .size:           8
        .value_kind:     by_value
      - .offset:         160
        .size:           4
        .value_kind:     by_value
      - .offset:         164
        .size:           4
        .value_kind:     by_value
      - .offset:         168
        .size:           8
        .value_kind:     by_value
      - .offset:         176
        .size:           4
        .value_kind:     by_value
      - .offset:         180
        .size:           4
        .value_kind:     by_value
      - .offset:         184
        .size:           4
        .value_kind:     by_value
      - .offset:         188
        .size:           4
        .value_kind:     by_value
      - .offset:         192
        .size:           4
        .value_kind:     by_value
      - .offset:         200
        .size:           8
        .value_kind:     by_value
      - .offset:         208
        .size:           4
        .value_kind:     hidden_block_count_x
      - .offset:         212
        .size:           4
        .value_kind:     hidden_block_count_y
      - .offset:         216
        .size:           4
        .value_kind:     hidden_block_count_z
      - .offset:         220
        .size:           2
        .value_kind:     hidden_group_size_x
      - .offset:         222
        .size:           2
        .value_kind:     hidden_group_size_y
      - .offset:         224
        .size:           2
        .value_kind:     hidden_group_size_z
      - .offset:         226
        .size:           2
        .value_kind:     hidden_remainder_x
      - .offset:         228
        .size:           2
        .value_kind:     hidden_remainder_y
      - .offset:         230
        .size:           2
        .value_kind:     hidden_remainder_z
      - .offset:         248
        .size:           8
        .value_kind:     hidden_global_offset_x
      - .offset:         256
        .size:           8
        .value_kind:     hidden_global_offset_y
      - .offset:         264
        .size:           8
        .value_kind:     hidden_global_offset_z
      - .offset:         272
        .size:           2
        .value_kind:     hidden_grid_dims
    .group_segment_fixed_size: 11776
    .kernarg_segment_align: 8
    .kernarg_segment_size: 464
    .language:       OpenCL C
    .language_version:
      - 2
      - 0
    .max_flat_workgroup_size: 256
    .name:           _ZL15flash_attn_tileILi192ELi128ELi2ELi8ELb1EEvPKcS1_S1_S1_S1_PKiPfP15HIP_vector_typeIfLj2EEffffjfiS5_IjLj3EEiiiiiiiiiiiliiliiiiil
    .private_segment_fixed_size: 0
    .sgpr_count:     42
    .sgpr_spill_count: 0
    .symbol:         _ZL15flash_attn_tileILi192ELi128ELi2ELi8ELb1EEvPKcS1_S1_S1_S1_PKiPfP15HIP_vector_typeIfLj2EEffffjfiS5_IjLj3EEiiiiiiiiiiiliiliiiiil.kd
    .uniform_work_group_size: 1
    .uses_dynamic_stack: false
    .vgpr_count:     94
    .vgpr_spill_count: 0
    .wavefront_size: 32
    .workgroup_processor_mode: 1
  - .args:
      - .address_space:  global
        .offset:         0
        .size:           8
        .value_kind:     global_buffer
      - .address_space:  global
        .offset:         8
        .size:           8
        .value_kind:     global_buffer
      - .address_space:  global
        .offset:         16
        .size:           8
        .value_kind:     global_buffer
      - .address_space:  global
        .offset:         24
        .size:           8
        .value_kind:     global_buffer
      - .address_space:  global
        .offset:         32
        .size:           8
        .value_kind:     global_buffer
      - .address_space:  global
        .offset:         40
        .size:           8
        .value_kind:     global_buffer
      - .address_space:  global
        .offset:         48
        .size:           8
        .value_kind:     global_buffer
      - .address_space:  global
        .offset:         56
        .size:           8
        .value_kind:     global_buffer
      - .offset:         64
        .size:           4
        .value_kind:     by_value
      - .offset:         68
        .size:           4
        .value_kind:     by_value
      - .offset:         72
        .size:           4
        .value_kind:     by_value
      - .offset:         76
        .size:           4
        .value_kind:     by_value
      - .offset:         80
        .size:           4
        .value_kind:     by_value
      - .offset:         84
        .size:           4
        .value_kind:     by_value
      - .offset:         88
        .size:           4
        .value_kind:     by_value
      - .offset:         92
        .size:           12
        .value_kind:     by_value
      - .offset:         104
        .size:           4
        .value_kind:     by_value
      - .offset:         108
        .size:           4
        .value_kind:     by_value
      - .offset:         112
        .size:           4
        .value_kind:     by_value
      - .offset:         116
        .size:           4
        .value_kind:     by_value
      - .offset:         120
        .size:           4
        .value_kind:     by_value
      - .offset:         124
        .size:           4
        .value_kind:     by_value
      - .offset:         128
        .size:           4
        .value_kind:     by_value
      - .offset:         132
        .size:           4
        .value_kind:     by_value
      - .offset:         136
        .size:           4
        .value_kind:     by_value
      - .offset:         140
        .size:           4
        .value_kind:     by_value
      - .offset:         144
        .size:           4
        .value_kind:     by_value
      - .offset:         152
        .size:           8
        .value_kind:     by_value
      - .offset:         160
        .size:           4
        .value_kind:     by_value
      - .offset:         164
        .size:           4
        .value_kind:     by_value
      - .offset:         168
        .size:           8
        .value_kind:     by_value
      - .offset:         176
        .size:           4
        .value_kind:     by_value
      - .offset:         180
        .size:           4
        .value_kind:     by_value
      - .offset:         184
        .size:           4
        .value_kind:     by_value
      - .offset:         188
        .size:           4
        .value_kind:     by_value
      - .offset:         192
        .size:           4
        .value_kind:     by_value
      - .offset:         200
        .size:           8
        .value_kind:     by_value
      - .offset:         208
        .size:           4
        .value_kind:     hidden_block_count_x
      - .offset:         212
        .size:           4
        .value_kind:     hidden_block_count_y
      - .offset:         216
        .size:           4
        .value_kind:     hidden_block_count_z
      - .offset:         220
        .size:           2
        .value_kind:     hidden_group_size_x
      - .offset:         222
        .size:           2
        .value_kind:     hidden_group_size_y
      - .offset:         224
        .size:           2
        .value_kind:     hidden_group_size_z
      - .offset:         226
        .size:           2
        .value_kind:     hidden_remainder_x
      - .offset:         228
        .size:           2
        .value_kind:     hidden_remainder_y
      - .offset:         230
        .size:           2
        .value_kind:     hidden_remainder_z
      - .offset:         248
        .size:           8
        .value_kind:     hidden_global_offset_x
      - .offset:         256
        .size:           8
        .value_kind:     hidden_global_offset_y
      - .offset:         264
        .size:           8
        .value_kind:     hidden_global_offset_z
      - .offset:         272
        .size:           2
        .value_kind:     hidden_grid_dims
    .group_segment_fixed_size: 8192
    .kernarg_segment_align: 8
    .kernarg_segment_size: 464
    .language:       OpenCL C
    .language_version:
      - 2
      - 0
    .max_flat_workgroup_size: 128
    .name:           _ZL15flash_attn_tileILi192ELi128ELi1ELi8ELb1EEvPKcS1_S1_S1_S1_PKiPfP15HIP_vector_typeIfLj2EEffffjfiS5_IjLj3EEiiiiiiiiiiiliiliiiiil
    .private_segment_fixed_size: 0
    .sgpr_count:     42
    .sgpr_spill_count: 0
    .symbol:         _ZL15flash_attn_tileILi192ELi128ELi1ELi8ELb1EEvPKcS1_S1_S1_S1_PKiPfP15HIP_vector_typeIfLj2EEffffjfiS5_IjLj3EEiiiiiiiiiiiliiliiiiil.kd
    .uniform_work_group_size: 1
    .uses_dynamic_stack: false
    .vgpr_count:     108
    .vgpr_spill_count: 0
    .wavefront_size: 32
    .workgroup_processor_mode: 1
amdhsa.target:   amdgcn-amd-amdhsa--gfx1030
amdhsa.version:
  - 1
  - 2
...

	.end_amdgpu_metadata
